;; amdgpu-corpus repo=ROCm/rocFFT kind=compiled arch=gfx950 opt=O3
	.text
	.amdgcn_target "amdgcn-amd-amdhsa--gfx950"
	.amdhsa_code_object_version 6
	.protected	bluestein_single_back_len845_dim1_sp_op_CI_CI ; -- Begin function bluestein_single_back_len845_dim1_sp_op_CI_CI
	.globl	bluestein_single_back_len845_dim1_sp_op_CI_CI
	.p2align	8
	.type	bluestein_single_back_len845_dim1_sp_op_CI_CI,@function
bluestein_single_back_len845_dim1_sp_op_CI_CI: ; @bluestein_single_back_len845_dim1_sp_op_CI_CI
; %bb.0:
	s_load_dwordx4 s[16:19], s[0:1], 0x28
	v_mul_u32_u24_e32 v1, 0x3f1, v0
	v_lshrrev_b32_e32 v2, 16, v1
	v_mad_u64_u32 v[90:91], s[2:3], s2, 3, v[2:3]
	v_mov_b32_e32 v91, 0
	s_waitcnt lgkmcnt(0)
	v_cmp_gt_u64_e32 vcc, s[16:17], v[90:91]
	s_and_saveexec_b64 s[2:3], vcc
	s_cbranch_execz .LBB0_10
; %bb.1:
	s_load_dwordx4 s[4:7], s[0:1], 0x18
	s_load_dwordx4 s[8:11], s[0:1], 0x0
	v_mul_lo_u16_e32 v1, 0x41, v2
	v_sub_u16_e32 v80, v0, v1
	v_mov_b32_e32 v4, s18
	s_waitcnt lgkmcnt(0)
	s_load_dwordx4 s[12:15], s[4:5], 0x0
	v_mov_b32_e32 v5, s19
	v_mov_b32_e32 v28, 0x208
	v_lshlrev_b32_e32 v56, 3, v80
	global_load_dwordx2 v[106:107], v56, s[8:9]
	s_waitcnt lgkmcnt(0)
	v_mad_u64_u32 v[0:1], s[2:3], s14, v90, 0
	v_mov_b32_e32 v2, v1
	v_mad_u64_u32 v[2:3], s[2:3], s15, v90, v[2:3]
	v_mov_b32_e32 v1, v2
	v_mad_u64_u32 v[2:3], s[2:3], s12, v80, 0
	v_mov_b32_e32 v6, v3
	v_mad_u64_u32 v[6:7], s[2:3], s13, v80, v[6:7]
	v_mov_b32_e32 v3, v6
	v_lshl_add_u64 v[0:1], v[0:1], 3, v[4:5]
	v_lshl_add_u64 v[0:1], v[2:3], 3, v[0:1]
	global_load_dwordx2 v[2:3], v[0:1], off
	v_mad_u64_u32 v[0:1], s[2:3], s12, v28, v[0:1]
	s_mul_i32 s4, s13, 0x208
	v_add_u32_e32 v1, s4, v1
	global_load_dwordx2 v[6:7], v[0:1], off
	global_load_dwordx2 v[102:103], v56, s[8:9] offset:520
	v_mad_u64_u32 v[0:1], s[2:3], s12, v28, v[0:1]
	v_add_u32_e32 v1, s4, v1
	v_mad_u64_u32 v[8:9], s[2:3], s12, v28, v[0:1]
	v_add_u32_e32 v9, s4, v9
	;; [unrolled: 2-line block ×3, first 2 shown]
	global_load_dwordx2 v[98:99], v56, s[8:9] offset:1040
	global_load_dwordx2 v[96:97], v56, s[8:9] offset:1560
	global_load_dwordx2 v[12:13], v[0:1], off
	global_load_dwordx2 v[14:15], v[8:9], off
	;; [unrolled: 1-line block ×3, first 2 shown]
	v_mad_u64_u32 v[0:1], s[2:3], s12, v28, v[10:11]
	v_add_u32_e32 v1, s4, v1
	global_load_dwordx2 v[8:9], v[0:1], off
	v_mad_u64_u32 v[0:1], s[2:3], s12, v28, v[0:1]
	v_add_u32_e32 v1, s4, v1
	global_load_dwordx2 v[104:105], v56, s[8:9] offset:2080
	global_load_dwordx2 v[10:11], v[0:1], off
	v_mad_u64_u32 v[0:1], s[2:3], s12, v28, v[0:1]
	v_add_u32_e32 v1, s4, v1
	v_mov_b32_e32 v57, v91
	global_load_dwordx2 v[100:101], v56, s[8:9] offset:2600
	global_load_dwordx2 v[18:19], v[0:1], off
	global_load_dwordx2 v[92:93], v56, s[8:9] offset:3120
	global_load_dwordx2 v[88:89], v56, s[8:9] offset:3640
	v_mad_u64_u32 v[0:1], s[2:3], s12, v28, v[0:1]
	v_lshl_add_u64 v[4:5], s[8:9], 0, v[56:57]
	v_add_u32_e32 v1, s4, v1
	s_movk_i32 s2, 0x1000
	global_load_dwordx2 v[20:21], v[0:1], off
	v_add_co_u32_e32 v4, vcc, s2, v4
	v_mad_u64_u32 v[0:1], s[2:3], s12, v28, v[0:1]
	s_nop 0
	v_addc_co_u32_e32 v5, vcc, 0, v5, vcc
	v_add_u32_e32 v1, s4, v1
	global_load_dwordx2 v[86:87], v[4:5], off offset:64
	global_load_dwordx2 v[22:23], v[0:1], off
	global_load_dwordx2 v[84:85], v[4:5], off offset:584
	v_mad_u64_u32 v[0:1], s[2:3], s12, v28, v[0:1]
	v_add_u32_e32 v1, s4, v1
	global_load_dwordx2 v[24:25], v[0:1], off
	global_load_dwordx2 v[82:83], v[4:5], off offset:1104
	v_mad_u64_u32 v[0:1], s[2:3], s12, v28, v[0:1]
	v_add_u32_e32 v1, s4, v1
	;; [unrolled: 4-line block ×3, first 2 shown]
	global_load_dwordx2 v[30:31], v[4:5], off offset:2144
	global_load_dwordx2 v[28:29], v[0:1], off
	s_mov_b32 s2, 0xaaaaaaab
	v_mul_hi_u32 v4, v90, s2
	v_lshrrev_b32_e32 v4, 1, v4
	v_lshl_add_u32 v4, v4, 1, v4
	v_sub_u32_e32 v4, v90, v4
	v_mul_u32_u24_e32 v4, 0x34d, v4
	v_lshlrev_b32_e32 v50, 3, v4
	v_add_u32_e32 v91, v56, v50
	v_add_u32_e32 v46, 0x800, v91
	;; [unrolled: 1-line block ×3, first 2 shown]
	s_load_dwordx4 s[4:7], s[6:7], 0x0
	s_mov_b32 s14, 0xbeedf032
	s_mov_b32 s16, 0xbf52af12
	;; [unrolled: 1-line block ×11, first 2 shown]
	s_waitcnt vmcnt(24)
	v_mul_f32_e32 v0, v3, v107
	v_mul_f32_e32 v1, v2, v107
	v_fmac_f32_e32 v0, v2, v106
	v_fma_f32 v1, v3, v106, -v1
	v_accvgpr_write_b32 a5, v50
	s_waitcnt vmcnt(22)
	v_mul_f32_e32 v2, v6, v103
	v_fma_f32 v3, v7, v102, -v2
	v_mul_f32_e32 v2, v7, v103
	v_fmac_f32_e32 v2, v6, v102
	ds_write2_b64 v91, v[0:1], v[2:3] offset1:65
	s_mov_b32 s38, 0x3f29c268
	s_mov_b32 s30, 0x3f7e222b
	s_mov_b32 s36, 0x3f6f5d39
	v_cmp_gt_u16_e32 vcc, 39, v80
	s_waitcnt vmcnt(19)
	v_mul_f32_e32 v0, v13, v99
	v_mul_f32_e32 v1, v12, v99
	s_waitcnt vmcnt(18)
	v_mul_f32_e32 v2, v15, v97
	v_mul_f32_e32 v3, v14, v97
	v_fmac_f32_e32 v0, v12, v98
	v_fma_f32 v1, v13, v98, -v1
	v_fmac_f32_e32 v2, v14, v96
	v_fma_f32 v3, v15, v96, -v3
	ds_write2_b64 v91, v[0:1], v[2:3] offset0:130 offset1:195
	s_waitcnt vmcnt(15)
	v_mul_f32_e32 v0, v17, v105
	v_mul_f32_e32 v1, v16, v105
	v_fmac_f32_e32 v0, v16, v104
	v_fma_f32 v1, v17, v104, -v1
	s_waitcnt vmcnt(13)
	v_mul_f32_e32 v2, v9, v101
	v_mul_f32_e32 v3, v8, v101
	v_fmac_f32_e32 v2, v8, v100
	v_fma_f32 v3, v9, v100, -v3
	ds_write2_b64 v46, v[0:1], v[2:3] offset0:4 offset1:69
	s_waitcnt vmcnt(11)
	v_mul_f32_e32 v0, v11, v93
	v_mul_f32_e32 v1, v10, v93
	s_waitcnt vmcnt(10)
	v_mul_f32_e32 v2, v19, v89
	v_mul_f32_e32 v3, v18, v89
	v_fmac_f32_e32 v0, v10, v92
	v_fma_f32 v1, v11, v92, -v1
	v_fmac_f32_e32 v2, v18, v88
	v_fma_f32 v3, v19, v88, -v3
	ds_write2_b64 v46, v[0:1], v[2:3] offset0:134 offset1:199
	s_waitcnt vmcnt(8)
	v_mul_f32_e32 v0, v21, v87
	v_mul_f32_e32 v1, v20, v87
	s_waitcnt vmcnt(6)
	v_mul_f32_e32 v2, v23, v85
	v_mul_f32_e32 v3, v22, v85
	v_fmac_f32_e32 v0, v20, v86
	v_fma_f32 v1, v21, v86, -v1
	;; [unrolled: 11-line block ×3, first 2 shown]
	v_fmac_f32_e32 v2, v26, v32
	v_fma_f32 v3, v27, v32, -v3
	ds_write2_b64 v47, v[0:1], v[2:3] offset0:138 offset1:203
	s_waitcnt vmcnt(0)
	v_mul_f32_e32 v0, v29, v31
	v_mul_f32_e32 v1, v28, v31
	v_fmac_f32_e32 v0, v28, v30
	v_fma_f32 v1, v29, v30, -v1
	ds_write_b64 v91, v[0:1] offset:6240
	s_waitcnt lgkmcnt(0)
	s_barrier
	ds_read2_b64 v[12:15], v46 offset0:4 offset1:69
	ds_read2_b64 v[16:19], v47 offset0:8 offset1:73
	ds_read2_b64 v[0:3], v91 offset1:65
	ds_read2_b64 v[20:23], v91 offset0:130 offset1:195
	ds_read2_b64 v[24:27], v46 offset0:134 offset1:199
	;; [unrolled: 1-line block ×3, first 2 shown]
	s_waitcnt lgkmcnt(4)
	v_pk_add_f32 v[4:5], v[16:17], v[14:15]
	s_waitcnt lgkmcnt(3)
	v_pk_add_f32 v[8:9], v[0:1], v[2:3]
	v_pk_add_f32 v[6:7], v[14:15], v[16:17] neg_lo:[0,1] neg_hi:[0,1]
	s_waitcnt lgkmcnt(2)
	v_pk_add_f32 v[8:9], v[8:9], v[20:21]
	v_pk_add_f32 v[10:11], v[18:19], v[12:13]
	;; [unrolled: 1-line block ×3, first 2 shown]
	v_accvgpr_write_b32 a0, v30
	v_pk_add_f32 v[8:9], v[8:9], v[12:13]
	s_waitcnt lgkmcnt(0)
	v_pk_add_f32 v[36:37], v[42:43], v[20:21]
	v_pk_add_f32 v[8:9], v[8:9], v[14:15]
	v_pk_add_f32 v[14:15], v[12:13], v[18:19] neg_lo:[0,1] neg_hi:[0,1]
	ds_read_b64 v[12:13], v91 offset:6240
	v_pk_add_f32 v[8:9], v[8:9], v[24:25]
	v_pk_add_f32 v[38:39], v[20:21], v[42:43] neg_lo:[0,1] neg_hi:[0,1]
	v_pk_add_f32 v[8:9], v[8:9], v[26:27]
	v_accvgpr_write_b32 a2, v32
	v_pk_add_f32 v[8:9], v[8:9], v[16:17]
	s_waitcnt lgkmcnt(0)
	v_pk_add_f32 v[44:45], v[2:3], v[12:13] neg_lo:[0,1] neg_hi:[0,1]
	v_pk_add_f32 v[8:9], v[8:9], v[18:19]
	v_accvgpr_write_b32 a1, v31
	v_pk_add_f32 v[8:9], v[8:9], v[40:41]
	v_pk_add_f32 v[30:31], v[26:27], v[24:25]
	;; [unrolled: 1-line block ×4, first 2 shown]
	v_pk_mul_f32 v[2:3], v[44:45], s[14:15] op_sel_hi:[1,0]
	v_pk_add_f32 v[34:35], v[24:25], v[26:27] neg_lo:[0,1] neg_hi:[0,1]
	v_pk_add_f32 v[24:25], v[8:9], v[12:13]
	v_pk_fma_f32 v[12:13], v[42:43], s[12:13], v[2:3] op_sel:[0,0,1] op_sel_hi:[1,0,0]
	v_pk_fma_f32 v[16:17], v[42:43], s[12:13], v[2:3] op_sel:[0,0,1] op_sel_hi:[1,0,0] neg_lo:[0,0,1] neg_hi:[0,0,1]
	v_pk_mul_f32 v[8:9], v[38:39], s[16:17] op_sel_hi:[1,0]
	v_accvgpr_write_b32 a3, v33
	v_pk_add_f32 v[32:33], v[22:23], v[40:41] neg_lo:[0,1] neg_hi:[0,1]
	v_pk_fma_f32 v[2:3], v[36:37], s[2:3], v[8:9] op_sel:[0,0,1] op_sel_hi:[1,0,0]
	v_pk_fma_f32 v[18:19], v[36:37], s[2:3], v[8:9] op_sel:[0,0,1] op_sel_hi:[1,0,0] neg_lo:[0,0,1] neg_hi:[0,0,1]
	v_mov_b32_e32 v9, v17
	v_mov_b32_e32 v17, v13
	v_pk_add_f32 v[28:29], v[40:41], v[22:23]
	v_pk_add_f32 v[16:17], v[0:1], v[16:17]
	v_mov_b32_e32 v13, v19
	v_mov_b32_e32 v19, v3
	s_mov_b32 s14, 0x3df6dbef
	v_pk_mul_f32 v[20:21], v[32:33], s[34:35] op_sel_hi:[1,0]
	v_pk_add_f32 v[18:19], v[18:19], v[16:17]
	v_pk_fma_f32 v[16:17], v[28:29], s[14:15], v[20:21] op_sel:[0,0,1] op_sel_hi:[1,0,0]
	v_pk_fma_f32 v[20:21], v[28:29], s[14:15], v[20:21] op_sel:[0,0,1] op_sel_hi:[1,0,0] neg_lo:[0,0,1] neg_hi:[0,0,1]
	v_pk_mul_f32 v[22:23], v[14:15], s[24:25] op_sel_hi:[1,0]
	v_mov_b32_e32 v3, v21
	v_mov_b32_e32 v21, v17
	v_pk_add_f32 v[18:19], v[20:21], v[18:19]
	v_pk_fma_f32 v[20:21], v[10:11], s[22:23], v[22:23] op_sel:[0,0,1] op_sel_hi:[1,0,0]
	v_pk_fma_f32 v[22:23], v[10:11], s[22:23], v[22:23] op_sel:[0,0,1] op_sel_hi:[1,0,0] neg_lo:[0,0,1] neg_hi:[0,0,1]
	v_pk_mul_f32 v[48:49], v[34:35], s[28:29] op_sel_hi:[1,0]
	v_mov_b32_e32 v17, v23
	v_mov_b32_e32 v23, v21
	v_pk_add_f32 v[26:27], v[22:23], v[18:19]
	v_pk_mul_f32 v[22:23], v[6:7], s[20:21] op_sel_hi:[1,0]
	v_mul_lo_u16_e32 v8, 13, v80
	v_pk_fma_f32 v[18:19], v[4:5], s[18:19], v[22:23] op_sel:[0,0,1] op_sel_hi:[1,0,0]
	v_pk_fma_f32 v[40:41], v[4:5], s[18:19], v[22:23] op_sel:[0,0,1] op_sel_hi:[1,0,0] neg_lo:[0,0,1] neg_hi:[0,0,1]
	v_lshl_add_u32 v127, v8, 3, v50
	v_mov_b32_e32 v23, v41
	v_mov_b32_e32 v41, v19
	v_pk_add_f32 v[26:27], v[40:41], v[26:27]
	v_pk_fma_f32 v[40:41], v[30:31], s[26:27], v[48:49] op_sel:[0,0,1] op_sel_hi:[1,0,0]
	v_pk_fma_f32 v[48:49], v[30:31], s[26:27], v[48:49] op_sel:[0,0,1] op_sel_hi:[1,0,0] neg_lo:[0,0,1] neg_hi:[0,0,1]
	s_nop 0
	v_mov_b32_e32 v19, v49
	v_mov_b32_e32 v49, v41
	v_pk_add_f32 v[26:27], v[48:49], v[26:27]
	s_barrier
	ds_write2_b64 v127, v[24:25], v[26:27] offset1:1
	v_pk_mul_f32 v[24:25], v[44:45], s[16:17] op_sel_hi:[1,0]
	v_pk_mul_f32 v[26:27], v[38:39], s[24:25] op_sel_hi:[1,0]
	v_pk_fma_f32 v[48:49], v[42:43], s[2:3], v[24:25] op_sel:[0,0,1] op_sel_hi:[1,0,0]
	v_pk_fma_f32 v[50:51], v[42:43], s[2:3], v[24:25] op_sel:[0,0,1] op_sel_hi:[1,0,0] neg_lo:[0,0,1] neg_hi:[0,0,1]
	v_mov_b32_e32 v24, v48
	v_mov_b32_e32 v25, v51
	v_pk_fma_f32 v[52:53], v[36:37], s[22:23], v[26:27] op_sel:[0,0,1] op_sel_hi:[1,0,0]
	v_pk_fma_f32 v[54:55], v[36:37], s[22:23], v[26:27] op_sel:[0,0,1] op_sel_hi:[1,0,0] neg_lo:[0,0,1] neg_hi:[0,0,1]
	v_pk_add_f32 v[24:25], v[0:1], v[24:25]
	v_mov_b32_e32 v26, v52
	v_mov_b32_e32 v27, v55
	v_pk_add_f32 v[24:25], v[26:27], v[24:25]
	v_pk_mul_f32 v[26:27], v[32:33], s[28:29] op_sel_hi:[1,0]
	v_pk_mul_f32 v[72:73], v[38:39], s[28:29] op_sel_hi:[1,0]
	v_pk_fma_f32 v[58:59], v[28:29], s[26:27], v[26:27] op_sel:[0,0,1] op_sel_hi:[1,0,0]
	v_pk_fma_f32 v[60:61], v[28:29], s[26:27], v[26:27] op_sel:[0,0,1] op_sel_hi:[1,0,0] neg_lo:[0,0,1] neg_hi:[0,0,1]
	v_mov_b32_e32 v26, v58
	v_mov_b32_e32 v27, v61
	v_pk_add_f32 v[24:25], v[26:27], v[24:25]
	v_pk_mul_f32 v[26:27], v[14:15], s[38:39] op_sel_hi:[1,0]
	v_pk_fma_f32 v[74:75], v[36:37], s[26:27], v[72:73] op_sel:[0,0,1] op_sel_hi:[1,0,0] neg_lo:[0,0,1] neg_hi:[0,0,1]
	v_pk_fma_f32 v[62:63], v[10:11], s[18:19], v[26:27] op_sel:[0,0,1] op_sel_hi:[1,0,0]
	v_pk_fma_f32 v[64:65], v[10:11], s[18:19], v[26:27] op_sel:[0,0,1] op_sel_hi:[1,0,0] neg_lo:[0,0,1] neg_hi:[0,0,1]
	v_mov_b32_e32 v26, v62
	v_mov_b32_e32 v27, v65
	v_pk_add_f32 v[24:25], v[26:27], v[24:25]
	v_pk_mul_f32 v[26:27], v[6:7], s[30:31] op_sel_hi:[1,0]
	v_pk_fma_f32 v[72:73], v[36:37], s[26:27], v[72:73] op_sel:[0,0,1] op_sel_hi:[1,0,0]
	v_pk_fma_f32 v[66:67], v[4:5], s[14:15], v[26:27] op_sel:[0,0,1] op_sel_hi:[1,0,0]
	v_pk_fma_f32 v[68:69], v[4:5], s[14:15], v[26:27] op_sel:[0,0,1] op_sel_hi:[1,0,0] neg_lo:[0,0,1] neg_hi:[0,0,1]
	v_mov_b32_e32 v26, v66
	v_mov_b32_e32 v27, v69
	v_pk_add_f32 v[24:25], v[26:27], v[24:25]
	v_pk_mul_f32 v[26:27], v[44:45], s[34:35] op_sel_hi:[1,0]
	v_mov_b32_e32 v51, v49
	v_pk_fma_f32 v[70:71], v[42:43], s[14:15], v[26:27] op_sel:[0,0,1] op_sel_hi:[1,0,0] neg_lo:[0,0,1] neg_hi:[0,0,1]
	v_pk_fma_f32 v[26:27], v[42:43], s[14:15], v[26:27] op_sel:[0,0,1] op_sel_hi:[1,0,0]
	v_mov_b32_e32 v76, v70
	v_mov_b32_e32 v77, v27
	v_mov_b32_e32 v27, v71
	v_pk_add_f32 v[26:27], v[0:1], v[26:27]
	v_mov_b32_e32 v71, v73
	v_mov_b32_e32 v73, v75
	v_pk_add_f32 v[26:27], v[72:73], v[26:27]
	v_pk_mul_f32 v[72:73], v[32:33], s[36:37] op_sel_hi:[1,0]
	s_mov_b32 s36, 0x3eedf032
	v_pk_fma_f32 v[108:109], v[28:29], s[22:23], v[72:73] op_sel:[0,0,1] op_sel_hi:[1,0,0]
	v_pk_fma_f32 v[72:73], v[28:29], s[22:23], v[72:73] op_sel:[0,0,1] op_sel_hi:[1,0,0] neg_lo:[0,0,1] neg_hi:[0,0,1]
	v_mov_b32_e32 v110, v108
	v_mov_b32_e32 v111, v73
	v_pk_add_f32 v[26:27], v[110:111], v[26:27]
	v_pk_mul_f32 v[110:111], v[14:15], s[36:37] op_sel_hi:[1,0]
	v_mov_b32_e32 v55, v53
	v_pk_fma_f32 v[112:113], v[10:11], s[12:13], v[110:111] op_sel:[0,0,1] op_sel_hi:[1,0,0]
	v_pk_fma_f32 v[110:111], v[10:11], s[12:13], v[110:111] op_sel:[0,0,1] op_sel_hi:[1,0,0] neg_lo:[0,0,1] neg_hi:[0,0,1]
	v_mov_b32_e32 v114, v112
	v_mov_b32_e32 v115, v111
	v_pk_add_f32 v[26:27], v[114:115], v[26:27]
	v_pk_mul_f32 v[114:115], v[6:7], s[16:17] op_sel_hi:[1,0]
	v_pk_add_f32 v[48:49], v[0:1], v[50:51]
	v_pk_fma_f32 v[116:117], v[4:5], s[2:3], v[114:115] op_sel:[0,0,1] op_sel_hi:[1,0,0]
	v_pk_fma_f32 v[114:115], v[4:5], s[2:3], v[114:115] op_sel:[0,0,1] op_sel_hi:[1,0,0] neg_lo:[0,0,1] neg_hi:[0,0,1]
	v_mov_b32_e32 v70, v74
	v_pk_add_f32 v[50:51], v[0:1], v[76:77]
	v_mov_b32_e32 v118, v116
	v_mov_b32_e32 v119, v115
	v_pk_add_f32 v[48:49], v[54:55], v[48:49]
	v_mov_b32_e32 v61, v59
	v_pk_add_f32 v[50:51], v[70:71], v[50:51]
	;; [unrolled: 2-line block ×3, first 2 shown]
	v_pk_mul_f32 v[26:27], v[34:35], s[36:37] op_sel_hi:[1,0]
	v_pk_mul_f32 v[124:125], v[34:35], s[20:21] op_sel_hi:[1,0]
	v_pk_add_f32 v[48:49], v[60:61], v[48:49]
	v_mov_b32_e32 v65, v63
	v_pk_add_f32 v[50:51], v[72:73], v[50:51]
	v_mov_b32_e32 v111, v113
	v_pk_fma_f32 v[120:121], v[30:31], s[12:13], v[26:27] op_sel:[0,0,1] op_sel_hi:[1,0,0]
	v_pk_fma_f32 v[122:123], v[30:31], s[12:13], v[26:27] op_sel:[0,0,1] op_sel_hi:[1,0,0] neg_lo:[0,0,1] neg_hi:[0,0,1]
	v_pk_fma_f32 v[128:129], v[30:31], s[18:19], v[124:125] op_sel:[0,0,1] op_sel_hi:[1,0,0]
	v_pk_fma_f32 v[124:125], v[30:31], s[18:19], v[124:125] op_sel:[0,0,1] op_sel_hi:[1,0,0] neg_lo:[0,0,1] neg_hi:[0,0,1]
	v_mov_b32_e32 v69, v67
	v_pk_add_f32 v[48:49], v[64:65], v[48:49]
	v_mov_b32_e32 v115, v117
	v_pk_add_f32 v[50:51], v[110:111], v[50:51]
	v_mov_b32_e32 v27, v123
	v_mov_b32_e32 v131, v125
	v_mov_b32_e32 v123, v121
	v_pk_add_f32 v[48:49], v[68:69], v[48:49]
	v_mov_b32_e32 v125, v129
	v_pk_add_f32 v[50:51], v[114:115], v[50:51]
	v_pk_add_f32 v[48:49], v[122:123], v[48:49]
	;; [unrolled: 1-line block ×3, first 2 shown]
	ds_write2_b64 v127, v[48:49], v[50:51] offset0:2 offset1:3
	v_pk_mul_f32 v[48:49], v[44:45], s[24:25] op_sel_hi:[1,0]
	v_pk_mul_f32 v[54:55], v[38:39], s[38:39] op_sel_hi:[1,0]
	v_pk_fma_f32 v[50:51], v[42:43], s[22:23], v[48:49] op_sel:[0,0,1] op_sel_hi:[1,0,0] neg_lo:[0,0,1] neg_hi:[0,0,1]
	v_pk_fma_f32 v[48:49], v[42:43], s[22:23], v[48:49] op_sel:[0,0,1] op_sel_hi:[1,0,0]
	v_mov_b32_e32 v52, v50
	v_mov_b32_e32 v53, v49
	v_pk_fma_f32 v[58:59], v[36:37], s[18:19], v[54:55] op_sel:[0,0,1] op_sel_hi:[1,0,0] neg_lo:[0,0,1] neg_hi:[0,0,1]
	v_pk_fma_f32 v[54:55], v[36:37], s[18:19], v[54:55] op_sel:[0,0,1] op_sel_hi:[1,0,0]
	v_pk_add_f32 v[52:53], v[0:1], v[52:53]
	v_mov_b32_e32 v60, v58
	v_mov_b32_e32 v61, v55
	v_pk_add_f32 v[52:53], v[60:61], v[52:53]
	v_pk_mul_f32 v[60:61], v[32:33], s[36:37] op_sel_hi:[1,0]
	s_mov_b32 s38, 0x3f52af12
	v_pk_fma_f32 v[62:63], v[28:29], s[12:13], v[60:61] op_sel:[0,0,1] op_sel_hi:[1,0,0] neg_lo:[0,0,1] neg_hi:[0,0,1]
	v_pk_fma_f32 v[60:61], v[28:29], s[12:13], v[60:61] op_sel:[0,0,1] op_sel_hi:[1,0,0]
	v_mov_b32_e32 v64, v62
	v_mov_b32_e32 v65, v61
	v_pk_add_f32 v[52:53], v[64:65], v[52:53]
	v_pk_mul_f32 v[64:65], v[14:15], s[34:35] op_sel_hi:[1,0]
	s_mov_b32 s34, 0x3e750f2a
	v_pk_fma_f32 v[66:67], v[10:11], s[14:15], v[64:65] op_sel:[0,0,1] op_sel_hi:[1,0,0] neg_lo:[0,0,1] neg_hi:[0,0,1]
	v_pk_fma_f32 v[64:65], v[10:11], s[14:15], v[64:65] op_sel:[0,0,1] op_sel_hi:[1,0,0]
	v_mov_b32_e32 v68, v66
	v_mov_b32_e32 v69, v65
	v_pk_add_f32 v[52:53], v[68:69], v[52:53]
	v_pk_mul_f32 v[68:69], v[6:7], s[34:35] op_sel_hi:[1,0]
	v_pk_mul_f32 v[112:113], v[38:39], s[30:31] op_sel_hi:[1,0]
	v_pk_fma_f32 v[70:71], v[4:5], s[26:27], v[68:69] op_sel:[0,0,1] op_sel_hi:[1,0,0] neg_lo:[0,0,1] neg_hi:[0,0,1]
	v_pk_fma_f32 v[68:69], v[4:5], s[26:27], v[68:69] op_sel:[0,0,1] op_sel_hi:[1,0,0]
	v_mov_b32_e32 v72, v70
	v_mov_b32_e32 v73, v69
	v_pk_add_f32 v[52:53], v[72:73], v[52:53]
	v_pk_mul_f32 v[72:73], v[34:35], s[38:39] op_sel_hi:[1,0]
	v_pk_fma_f32 v[114:115], v[36:37], s[14:15], v[112:113] op_sel:[0,0,1] op_sel_hi:[1,0,0] neg_lo:[0,0,1] neg_hi:[0,0,1]
	v_pk_fma_f32 v[74:75], v[30:31], s[2:3], v[72:73] op_sel:[0,0,1] op_sel_hi:[1,0,0] neg_lo:[0,0,1] neg_hi:[0,0,1]
	v_pk_fma_f32 v[72:73], v[30:31], s[2:3], v[72:73] op_sel:[0,0,1] op_sel_hi:[1,0,0]
	v_mov_b32_e32 v76, v74
	v_mov_b32_e32 v77, v73
	v_pk_add_f32 v[52:53], v[76:77], v[52:53]
	v_pk_mul_f32 v[76:77], v[44:45], s[20:21] op_sel_hi:[1,0]
	v_pk_fma_f32 v[112:113], v[36:37], s[14:15], v[112:113] op_sel:[0,0,1] op_sel_hi:[1,0,0]
	v_pk_fma_f32 v[108:109], v[42:43], s[18:19], v[76:77] op_sel:[0,0,1] op_sel_hi:[1,0,0] neg_lo:[0,0,1] neg_hi:[0,0,1]
	v_pk_fma_f32 v[76:77], v[42:43], s[18:19], v[76:77] op_sel:[0,0,1] op_sel_hi:[1,0,0]
	v_mov_b32_e32 v110, v108
	v_mov_b32_e32 v111, v77
	v_pk_add_f32 v[110:111], v[0:1], v[110:111]
	v_mov_b32_e32 v116, v114
	v_mov_b32_e32 v117, v113
	;; [unrolled: 1-line block ×4, first 2 shown]
	v_pk_add_f32 v[110:111], v[116:117], v[110:111]
	v_pk_mul_f32 v[116:117], v[32:33], s[16:17] op_sel_hi:[1,0]
	v_pk_add_f32 v[26:27], v[26:27], v[24:25]
	v_pk_add_f32 v[24:25], v[130:131], v[118:119]
	v_pk_fma_f32 v[118:119], v[28:29], s[2:3], v[116:117] op_sel:[0,0,1] op_sel_hi:[1,0,0] neg_lo:[0,0,1] neg_hi:[0,0,1]
	v_pk_fma_f32 v[116:117], v[28:29], s[2:3], v[116:117] op_sel:[0,0,1] op_sel_hi:[1,0,0]
	v_mov_b32_e32 v120, v118
	v_mov_b32_e32 v121, v117
	v_pk_add_f32 v[110:111], v[120:121], v[110:111]
	v_pk_mul_f32 v[120:121], v[14:15], s[34:35] op_sel_hi:[1,0]
	v_pk_mul_f32 v[38:39], v[38:39], s[36:37] op_sel_hi:[1,0]
	v_pk_fma_f32 v[122:123], v[10:11], s[26:27], v[120:121] op_sel:[0,0,1] op_sel_hi:[1,0,0] neg_lo:[0,0,1] neg_hi:[0,0,1]
	v_pk_fma_f32 v[120:121], v[10:11], s[26:27], v[120:121] op_sel:[0,0,1] op_sel_hi:[1,0,0]
	v_mov_b32_e32 v124, v122
	v_mov_b32_e32 v125, v121
	v_pk_add_f32 v[110:111], v[124:125], v[110:111]
	v_pk_mul_f32 v[124:125], v[6:7], s[36:37] op_sel_hi:[1,0]
	v_pk_mul_f32 v[6:7], v[6:7], s[24:25] op_sel_hi:[1,0]
	v_pk_fma_f32 v[128:129], v[4:5], s[12:13], v[124:125] op_sel:[0,0,1] op_sel_hi:[1,0,0] neg_lo:[0,0,1] neg_hi:[0,0,1]
	v_pk_fma_f32 v[124:125], v[4:5], s[12:13], v[124:125] op_sel:[0,0,1] op_sel_hi:[1,0,0]
	v_mov_b32_e32 v130, v128
	v_mov_b32_e32 v131, v125
	v_pk_add_f32 v[110:111], v[130:131], v[110:111]
	v_pk_mul_f32 v[130:131], v[34:35], s[24:25] op_sel_hi:[1,0]
	v_pk_mul_f32 v[32:33], v[32:33], s[20:21] op_sel_hi:[1,0]
	v_pk_fma_f32 v[132:133], v[30:31], s[22:23], v[130:131] op_sel:[0,0,1] op_sel_hi:[1,0,0] neg_lo:[0,0,1] neg_hi:[0,0,1]
	v_pk_fma_f32 v[130:131], v[30:31], s[22:23], v[130:131] op_sel:[0,0,1] op_sel_hi:[1,0,0]
	v_mov_b32_e32 v134, v132
	v_mov_b32_e32 v135, v131
	v_pk_add_f32 v[110:111], v[134:135], v[110:111]
	ds_write2_b64 v127, v[52:53], v[110:111] offset0:4 offset1:5
	v_pk_fma_f32 v[52:53], v[4:5], s[22:23], v[6:7] op_sel:[0,0,1] op_sel_hi:[1,0,0] neg_lo:[0,0,1] neg_hi:[0,0,1]
	v_pk_fma_f32 v[4:5], v[4:5], s[22:23], v[6:7] op_sel:[0,0,1] op_sel_hi:[1,0,0]
	v_pk_mul_f32 v[6:7], v[44:45], s[28:29] op_sel_hi:[1,0]
	v_pk_mul_f32 v[34:35], v[34:35], s[30:31] op_sel_hi:[1,0]
	v_pk_fma_f32 v[44:45], v[42:43], s[26:27], v[6:7] op_sel:[0,0,1] op_sel_hi:[1,0,0] neg_lo:[0,0,1] neg_hi:[0,0,1]
	v_pk_fma_f32 v[6:7], v[42:43], s[26:27], v[6:7] op_sel:[0,0,1] op_sel_hi:[1,0,0]
	v_pk_fma_f32 v[42:43], v[36:37], s[12:13], v[38:39] op_sel:[0,0,1] op_sel_hi:[1,0,0] neg_lo:[0,0,1] neg_hi:[0,0,1]
	v_pk_fma_f32 v[36:37], v[36:37], s[12:13], v[38:39] op_sel:[0,0,1] op_sel_hi:[1,0,0]
	v_mov_b32_e32 v38, v44
	v_mov_b32_e32 v39, v7
	v_pk_add_f32 v[38:39], v[0:1], v[38:39]
	v_mov_b32_e32 v110, v42
	v_mov_b32_e32 v111, v37
	v_pk_add_f32 v[38:39], v[110:111], v[38:39]
	v_pk_fma_f32 v[110:111], v[28:29], s[18:19], v[32:33] op_sel:[0,0,1] op_sel_hi:[1,0,0] neg_lo:[0,0,1] neg_hi:[0,0,1]
	v_pk_fma_f32 v[28:29], v[28:29], s[18:19], v[32:33] op_sel:[0,0,1] op_sel_hi:[1,0,0]
	v_mov_b32_e32 v7, v45
	v_mov_b32_e32 v32, v110
	;; [unrolled: 1-line block ×3, first 2 shown]
	v_pk_mul_f32 v[14:15], v[14:15], s[38:39] op_sel_hi:[1,0]
	v_mov_b32_e32 v37, v43
	v_pk_add_f32 v[6:7], v[0:1], v[6:7]
	v_pk_add_f32 v[32:33], v[32:33], v[38:39]
	v_pk_fma_f32 v[38:39], v[30:31], s[14:15], v[34:35] op_sel:[0,0,1] op_sel_hi:[1,0,0] neg_lo:[0,0,1] neg_hi:[0,0,1]
	v_pk_fma_f32 v[30:31], v[30:31], s[14:15], v[34:35] op_sel:[0,0,1] op_sel_hi:[1,0,0]
	v_pk_fma_f32 v[34:35], v[10:11], s[2:3], v[14:15] op_sel:[0,0,1] op_sel_hi:[1,0,0] neg_lo:[0,0,1] neg_hi:[0,0,1]
	v_pk_fma_f32 v[10:11], v[10:11], s[2:3], v[14:15] op_sel:[0,0,1] op_sel_hi:[1,0,0]
	v_pk_add_f32 v[6:7], v[36:37], v[6:7]
	v_mov_b32_e32 v29, v111
	v_mov_b32_e32 v14, v34
	;; [unrolled: 1-line block ×3, first 2 shown]
	v_pk_add_f32 v[6:7], v[28:29], v[6:7]
	v_mov_b32_e32 v11, v35
	v_pk_add_f32 v[14:15], v[14:15], v[32:33]
	v_mov_b32_e32 v32, v52
	v_mov_b32_e32 v33, v5
	;; [unrolled: 1-line block ×3, first 2 shown]
	v_pk_add_f32 v[6:7], v[10:11], v[6:7]
	v_pk_add_f32 v[14:15], v[32:33], v[14:15]
	v_mov_b32_e32 v32, v38
	v_mov_b32_e32 v33, v31
	v_mov_b32_e32 v31, v39
	v_pk_add_f32 v[4:5], v[4:5], v[6:7]
	v_pk_add_f32 v[14:15], v[32:33], v[14:15]
	;; [unrolled: 1-line block ×3, first 2 shown]
	v_mov_b32_e32 v8, v12
	ds_write2_b64 v127, v[14:15], v[4:5] offset0:6 offset1:7
	v_mov_b32_e32 v77, v109
	v_mov_b32_e32 v49, v51
	v_pk_add_f32 v[4:5], v[0:1], v[8:9]
	v_mov_b32_e32 v12, v2
	v_pk_add_f32 v[6:7], v[0:1], v[76:77]
	v_pk_add_f32 v[0:1], v[0:1], v[48:49]
	;; [unrolled: 1-line block ×3, first 2 shown]
	v_mov_b32_e32 v2, v16
	v_mov_b32_e32 v113, v115
	;; [unrolled: 1-line block ×3, first 2 shown]
	v_pk_add_f32 v[2:3], v[2:3], v[4:5]
	v_pk_add_f32 v[4:5], v[112:113], v[6:7]
	v_mov_b32_e32 v117, v119
	v_pk_add_f32 v[0:1], v[54:55], v[0:1]
	v_mov_b32_e32 v61, v63
	;; [unrolled: 2-line block ×4, first 2 shown]
	v_mov_b32_e32 v16, v20
	v_mov_b32_e32 v125, v129
	v_pk_add_f32 v[4:5], v[120:121], v[4:5]
	v_mov_b32_e32 v69, v71
	v_pk_add_f32 v[0:1], v[64:65], v[0:1]
	;; [unrolled: 2-line block ×6, first 2 shown]
	v_pk_add_f32 v[4:5], v[130:131], v[4:5]
	v_pk_add_f32 v[0:1], v[72:73], v[0:1]
	;; [unrolled: 1-line block ×3, first 2 shown]
	ds_write2_b64 v127, v[4:5], v[0:1] offset0:8 offset1:9
	ds_write2_b64 v127, v[24:25], v[26:27] offset0:10 offset1:11
	ds_write_b64 v127, v[48:49] offset:96
	s_waitcnt lgkmcnt(0)
	s_barrier
	ds_read2_b64 v[28:31], v91 offset1:65
	ds_read2_b64 v[36:39], v46 offset0:82 offset1:147
	v_add_u32_e32 v0, 0xc00, v91
	ds_read2_b64 v[32:35], v47 offset0:164 offset1:229
	ds_read2_b64 v[44:47], v91 offset0:169 offset1:234
	ds_read2_b64 v[40:43], v0 offset0:123 offset1:188
	s_load_dwordx2 s[2:3], s[0:1], 0x38
                                        ; implicit-def: $vgpr52
                                        ; implicit-def: $vgpr54
                                        ; implicit-def: $vgpr58
	s_and_saveexec_b64 s[0:1], vcc
	s_cbranch_execz .LBB0_3
; %bb.2:
	v_add_u32_e32 v1, 0x400, v91
	ds_read2_b64 v[48:51], v0 offset0:84 offset1:253
	ds_read_b64 v[54:55], v91 offset:6448
	ds_read2_b64 v[24:27], v1 offset0:2 offset1:171
	s_waitcnt lgkmcnt(0)
	v_mov_b32_e32 v52, v51
	v_mov_b32_e32 v58, v55
.LBB0_3:
	s_or_b64 exec, exec, s[0:1]
	s_movk_i32 s0, 0x4f
	v_mul_lo_u16_sdwa v0, v80, s0 dst_sel:DWORD dst_unused:UNUSED_PAD src0_sel:BYTE_0 src1_sel:DWORD
	v_lshrrev_b16_e32 v51, 10, v0
	v_mul_lo_u16_e32 v0, 13, v51
	v_sub_u16_e32 v53, v80, v0
	v_mov_b32_e32 v0, 5
	v_lshlrev_b32_sdwa v1, v0, v53 dst_sel:DWORD dst_unused:UNUSED_PAD src0_sel:DWORD src1_sel:BYTE_0
	global_load_dwordx4 v[16:19], v1, s[10:11] offset:16
	global_load_dwordx4 v[20:23], v1, s[10:11]
	v_add_u16_e32 v1, 0x41, v80
	v_mul_lo_u16_sdwa v2, v1, s0 dst_sel:DWORD dst_unused:UNUSED_PAD src0_sel:BYTE_0 src1_sel:DWORD
	v_lshrrev_b16_e32 v78, 10, v2
	v_mul_lo_u16_e32 v2, 13, v78
	v_sub_u16_e32 v79, v1, v2
	v_lshlrev_b32_sdwa v1, v0, v79 dst_sel:DWORD dst_unused:UNUSED_PAD src0_sel:DWORD src1_sel:BYTE_0
	global_load_dwordx4 v[8:11], v1, s[10:11] offset:16
	global_load_dwordx4 v[12:15], v1, s[10:11]
	v_add_u16_e32 v1, 0x82, v80
	v_mul_lo_u16_sdwa v2, v1, s0 dst_sel:DWORD dst_unused:UNUSED_PAD src0_sel:BYTE_0 src1_sel:DWORD
	v_lshrrev_b16_e32 v2, 10, v2
	v_accvgpr_write_b32 a6, v2
	v_mul_lo_u16_e32 v2, 13, v2
	v_sub_u16_e32 v1, v1, v2
	v_lshlrev_b32_sdwa v55, v0, v1 dst_sel:DWORD dst_unused:UNUSED_PAD src0_sel:DWORD src1_sel:BYTE_0
	v_accvgpr_write_b32 a7, v1
	global_load_dwordx4 v[4:7], v55, s[10:11]
	global_load_dwordx4 v[0:3], v55, s[10:11] offset:16
	v_mul_u32_u24_e32 v51, 0x41, v51
	v_add_u32_sdwa v51, v51, v53 dst_sel:DWORD dst_unused:UNUSED_PAD src0_sel:DWORD src1_sel:BYTE_0
	v_accvgpr_read_b32 v81, a5
	v_lshl_add_u32 v94, v51, 3, v81
	s_mov_b32 s14, 0x3f737871
	s_mov_b32 s0, 0x3f167918
	;; [unrolled: 1-line block ×3, first 2 shown]
	s_waitcnt lgkmcnt(0)
	s_barrier
	v_mov_b32_e32 v57, 0
	v_accvgpr_write_b32 a10, v94
	s_waitcnt vmcnt(5)
	v_pk_mul_f32 v[70:71], v[40:41], v[16:17] op_sel:[0,1]
	s_waitcnt vmcnt(4)
	v_mov_b32_e32 v118, v23
	v_pk_mul_f32 v[68:69], v[44:45], v[20:21] op_sel:[0,1]
	v_mov_b32_e32 v110, v19
	v_pk_fma_f32 v[72:73], v[44:45], v[20:21], v[68:69] op_sel:[0,0,1] op_sel_hi:[1,1,0] neg_lo:[0,0,1] neg_hi:[0,0,1]
	v_pk_fma_f32 v[44:45], v[44:45], v[20:21], v[68:69] op_sel:[0,0,1] op_sel_hi:[1,0,0]
	v_pk_fma_f32 v[68:69], v[40:41], v[16:17], v[70:71] op_sel:[0,0,1] op_sel_hi:[1,1,0] neg_lo:[0,0,1] neg_hi:[0,0,1]
	v_pk_fma_f32 v[40:41], v[40:41], v[16:17], v[70:71] op_sel:[0,0,1] op_sel_hi:[1,0,0]
	v_mov_b32_e32 v73, v45
	v_mov_b32_e32 v69, v41
	v_pk_mul_f32 v[70:71], v[32:33], v[110:111] op_sel_hi:[1,0]
	s_waitcnt vmcnt(2)
	v_mov_b32_e32 v120, v15
	v_mov_b32_e32 v112, v11
	v_accvgpr_write_b32 a14, v17
	v_mul_u32_u24_e32 v17, 0x41, v78
	v_add_u32_sdwa v17, v17, v79 dst_sel:DWORD dst_unused:UNUSED_PAD src0_sel:DWORD src1_sel:BYTE_0
	s_waitcnt vmcnt(1)
	v_pk_mul_f32 v[60:61], v[26:27], v[4:5] op_sel:[1,0]
	v_pk_mul_f32 v[62:63], v[48:49], v[6:7] op_sel:[1,0]
	s_waitcnt vmcnt(0)
	v_pk_mul_f32 v[64:65], v[52:53], v[0:1] op_sel_hi:[0,1]
	v_pk_mul_f32 v[66:67], v[58:59], v[2:3] op_sel_hi:[0,1]
	v_pk_fma_f32 v[52:53], v[26:27], v[4:5], v[60:61] op_sel:[0,0,1] op_sel_hi:[1,1,0] neg_lo:[0,0,1] neg_hi:[0,0,1]
	v_pk_fma_f32 v[26:27], v[26:27], v[4:5], v[60:61] op_sel:[0,0,1] op_sel_hi:[0,1,0]
	v_pk_fma_f32 v[58:59], v[48:49], v[6:7], v[62:63] op_sel:[0,0,1] op_sel_hi:[1,1,0] neg_lo:[0,0,1] neg_hi:[0,0,1]
	v_pk_fma_f32 v[60:61], v[48:49], v[6:7], v[62:63] op_sel:[0,0,1] op_sel_hi:[0,1,0]
	;; [unrolled: 2-line block ×4, first 2 shown]
	v_mov_b32_e32 v59, v61
	v_mov_b32_e32 v49, v63
	v_pk_mul_f32 v[64:65], v[36:37], v[118:119] op_sel_hi:[1,0]
	v_mov_b32_e32 v53, v27
	v_mov_b32_e32 v51, v55
	v_pk_add_f32 v[62:63], v[58:59], v[48:49]
	v_pk_fma_f32 v[74:75], v[36:37], v[22:23], v[64:65] op_sel:[0,0,1] op_sel_hi:[1,1,0] neg_lo:[0,0,1] neg_hi:[0,0,1]
	v_pk_fma_f32 v[26:27], v[36:37], v[22:23], v[64:65] op_sel:[0,0,1] op_sel_hi:[1,0,0]
	v_pk_add_f32 v[54:55], v[52:53], v[50:51] neg_lo:[0,1] neg_hi:[0,1]
	v_pk_add_f32 v[36:37], v[52:53], v[50:51]
	v_pk_add_f32 v[40:41], v[58:59], v[52:53] neg_lo:[0,1] neg_hi:[0,1]
	v_pk_add_f32 v[60:61], v[48:49], v[50:51] neg_lo:[0,1] neg_hi:[0,1]
	v_pk_fma_f32 v[62:63], v[62:63], 0.5, v[24:25] op_sel_hi:[1,0,1] neg_lo:[1,0,0] neg_hi:[1,0,0]
	v_pk_add_f32 v[44:45], v[58:59], v[48:49] neg_lo:[0,1] neg_hi:[0,1]
	v_mov_b32_e32 v75, v27
	v_pk_fma_f32 v[26:27], v[36:37], 0.5, v[24:25] op_sel_hi:[1,0,1] neg_lo:[1,0,0] neg_hi:[1,0,0]
	v_pk_add_f32 v[64:65], v[40:41], v[60:61]
	v_pk_fma_f32 v[60:61], v[54:55], s[14:15], v[62:63] op_sel:[1,0,0] op_sel_hi:[0,0,1] neg_lo:[1,0,0] neg_hi:[1,0,0]
	v_pk_fma_f32 v[62:63], v[54:55], s[14:15], v[62:63] op_sel:[1,0,0] op_sel_hi:[0,0,1]
	v_pk_add_f32 v[66:67], v[52:53], v[58:59] neg_lo:[0,1] neg_hi:[0,1]
	v_pk_add_f32 v[76:77], v[50:51], v[48:49] neg_lo:[0,1] neg_hi:[0,1]
	v_pk_fma_f32 v[36:37], v[44:45], s[14:15], v[26:27] op_sel:[1,0,0] op_sel_hi:[0,0,1]
	v_pk_fma_f32 v[40:41], v[44:45], s[14:15], v[26:27] op_sel:[1,0,0] op_sel_hi:[0,0,1] neg_lo:[1,0,0] neg_hi:[1,0,0]
	v_pk_fma_f32 v[108:109], v[44:45], s[0:1], v[60:61] op_sel:[1,0,0] op_sel_hi:[0,0,1] neg_lo:[1,0,0] neg_hi:[1,0,0]
	v_pk_fma_f32 v[128:129], v[44:45], s[0:1], v[62:63] op_sel:[1,0,0] op_sel_hi:[0,0,1]
	v_pk_add_f32 v[66:67], v[66:67], v[76:77]
	v_pk_fma_f32 v[26:27], v[54:55], s[0:1], v[36:37] op_sel:[1,0,0] op_sel_hi:[0,0,1] neg_lo:[1,0,0] neg_hi:[1,0,0]
	v_pk_fma_f32 v[76:77], v[54:55], s[0:1], v[40:41] op_sel:[1,0,0] op_sel_hi:[0,0,1]
	v_mov_b32_e32 v109, v129
	v_mov_b32_e32 v27, v77
	v_pk_fma_f32 v[76:77], v[66:67], s[12:13], v[108:109] op_sel_hi:[1,0,1]
	v_pk_add_f32 v[132:133], v[74:75], v[68:69] neg_lo:[0,1] neg_hi:[0,1]
	v_accvgpr_write_b32 a8, v76
	v_accvgpr_write_b32 a9, v77
	v_pk_fma_f32 v[76:77], v[32:33], v[18:19], v[70:71] op_sel:[0,0,1] op_sel_hi:[1,1,0] neg_lo:[0,0,1] neg_hi:[0,0,1]
	v_pk_fma_f32 v[32:33], v[32:33], v[18:19], v[70:71] op_sel:[0,0,1] op_sel_hi:[1,0,0]
	v_pk_add_f32 v[70:71], v[74:75], v[68:69]
	v_mov_b32_e32 v77, v33
	v_pk_add_f32 v[128:129], v[72:73], v[76:77] neg_lo:[0,1] neg_hi:[0,1]
	v_pk_fma_f32 v[70:71], v[70:71], 0.5, v[28:29] op_sel_hi:[1,0,1] neg_lo:[1,0,0] neg_hi:[1,0,0]
	v_pk_mul_f32 v[130:131], v[128:129], s[14:15] op_sel_hi:[1,0]
	v_pk_add_f32 v[134:135], v[72:73], v[74:75] neg_lo:[0,1] neg_hi:[0,1]
	v_pk_add_f32 v[136:137], v[76:77], v[68:69] neg_lo:[0,1] neg_hi:[0,1]
	v_pk_add_f32 v[32:33], v[28:29], v[72:73]
	v_pk_add_f32 v[134:135], v[134:135], v[136:137]
	v_pk_add_f32 v[136:137], v[70:71], v[130:131] op_sel:[0,1] op_sel_hi:[1,0]
	v_pk_add_f32 v[70:71], v[70:71], v[130:131] op_sel:[0,1] op_sel_hi:[1,0] neg_lo:[0,1] neg_hi:[0,1]
	v_pk_mul_f32 v[130:131], v[132:133], s[0:1] op_sel_hi:[1,0]
	v_pk_add_f32 v[32:33], v[32:33], v[74:75]
	v_pk_add_f32 v[70:71], v[70:71], v[130:131] op_sel:[0,1] op_sel_hi:[1,0] neg_lo:[0,1] neg_hi:[0,1]
	v_pk_add_f32 v[130:131], v[136:137], v[130:131] op_sel:[0,1] op_sel_hi:[1,0]
	v_pk_add_f32 v[32:33], v[32:33], v[68:69]
	v_mov_b32_e32 v136, v130
	v_mov_b32_e32 v137, v71
	v_pk_add_f32 v[32:33], v[32:33], v[76:77]
	v_pk_fma_f32 v[136:137], v[134:135], s[12:13], v[136:137] op_sel_hi:[1,0,1]
	ds_write2_b64 v94, v[32:33], v[136:137] offset1:13
	v_pk_add_f32 v[32:33], v[72:73], v[76:77]
	v_pk_add_f32 v[68:69], v[68:69], v[76:77] neg_lo:[0,1] neg_hi:[0,1]
	v_pk_fma_f32 v[28:29], v[32:33], 0.5, v[28:29] op_sel_hi:[1,0,1] neg_lo:[1,0,0] neg_hi:[1,0,0]
	v_pk_add_f32 v[32:33], v[74:75], v[72:73] neg_lo:[0,1] neg_hi:[0,1]
	v_pk_mul_f32 v[72:73], v[128:129], s[0:1] op_sel_hi:[1,0]
	v_pk_add_f32 v[32:33], v[32:33], v[68:69]
	v_pk_mul_f32 v[68:69], v[132:133], s[14:15] op_sel_hi:[1,0]
	v_mov_b32_e32 v71, v131
	v_pk_add_f32 v[74:75], v[28:29], v[68:69] op_sel:[0,1] op_sel_hi:[1,0] neg_lo:[0,1] neg_hi:[0,1]
	v_pk_add_f32 v[28:29], v[28:29], v[68:69] op_sel:[0,1] op_sel_hi:[1,0]
	v_pk_add_f32 v[68:69], v[74:75], v[72:73] op_sel:[0,1] op_sel_hi:[1,0]
	v_pk_add_f32 v[28:29], v[28:29], v[72:73] op_sel:[0,1] op_sel_hi:[1,0] neg_lo:[0,1] neg_hi:[0,1]
	v_mov_b32_e32 v72, v68
	v_mov_b32_e32 v73, v29
	;; [unrolled: 1-line block ×3, first 2 shown]
	v_pk_fma_f32 v[72:73], v[32:33], s[12:13], v[72:73] op_sel_hi:[1,0,1]
	v_pk_fma_f32 v[28:29], v[32:33], s[12:13], v[28:29] op_sel_hi:[1,0,1]
	ds_write2_b64 v94, v[72:73], v[28:29] offset0:26 offset1:39
	v_pk_fma_f32 v[28:29], v[134:135], s[12:13], v[70:71] op_sel_hi:[1,0,1]
	ds_write_b64 v94, v[28:29] offset:416
	v_pk_mul_f32 v[28:29], v[46:47], v[12:13] op_sel:[0,1]
	v_lshl_add_u32 v17, v17, 3, v81
	v_pk_fma_f32 v[32:33], v[46:47], v[12:13], v[28:29] op_sel:[0,0,1] op_sel_hi:[1,1,0] neg_lo:[0,0,1] neg_hi:[0,0,1]
	v_pk_fma_f32 v[28:29], v[46:47], v[12:13], v[28:29] op_sel:[0,0,1] op_sel_hi:[1,0,0]
	v_accvgpr_write_b32 a18, v21
	v_mov_b32_e32 v33, v29
	v_pk_mul_f32 v[28:29], v[38:39], v[120:121] op_sel_hi:[1,0]
	v_accvgpr_write_b32 a12, v9
	v_pk_fma_f32 v[46:47], v[38:39], v[14:15], v[28:29] op_sel:[0,0,1] op_sel_hi:[1,1,0] neg_lo:[0,0,1] neg_hi:[0,0,1]
	v_pk_fma_f32 v[28:29], v[38:39], v[14:15], v[28:29] op_sel:[0,0,1] op_sel_hi:[1,0,0]
	v_accvgpr_write_b32 a16, v13
	v_mov_b32_e32 v47, v29
	v_pk_mul_f32 v[28:29], v[42:43], v[8:9] op_sel:[0,1]
	v_pk_add_f32 v[76:77], v[32:33], v[46:47] neg_lo:[0,1] neg_hi:[0,1]
	v_pk_fma_f32 v[38:39], v[42:43], v[8:9], v[28:29] op_sel:[0,0,1] op_sel_hi:[1,1,0] neg_lo:[0,0,1] neg_hi:[0,0,1]
	v_pk_fma_f32 v[28:29], v[42:43], v[8:9], v[28:29] op_sel:[0,0,1] op_sel_hi:[1,0,0]
	v_pk_fma_f32 v[26:27], v[64:65], s[12:13], v[26:27] op_sel_hi:[1,0,1]
	v_mov_b32_e32 v39, v29
	v_pk_mul_f32 v[28:29], v[34:35], v[112:113] op_sel_hi:[1,0]
	v_pk_add_f32 v[72:73], v[46:47], v[38:39] neg_lo:[0,1] neg_hi:[0,1]
	v_pk_fma_f32 v[42:43], v[34:35], v[10:11], v[28:29] op_sel:[0,0,1] op_sel_hi:[1,1,0] neg_lo:[0,0,1] neg_hi:[0,0,1]
	v_pk_fma_f32 v[28:29], v[34:35], v[10:11], v[28:29] op_sel:[0,0,1] op_sel_hi:[1,0,0]
	v_pk_add_f32 v[34:35], v[46:47], v[38:39]
	v_mov_b32_e32 v43, v29
	v_pk_add_f32 v[68:69], v[32:33], v[42:43] neg_lo:[0,1] neg_hi:[0,1]
	v_pk_fma_f32 v[34:35], v[34:35], 0.5, v[30:31] op_sel_hi:[1,0,1] neg_lo:[1,0,0] neg_hi:[1,0,0]
	v_pk_mul_f32 v[70:71], v[68:69], s[14:15] op_sel_hi:[1,0]
	v_pk_add_f32 v[128:129], v[42:43], v[38:39] neg_lo:[0,1] neg_hi:[0,1]
	v_pk_add_f32 v[28:29], v[30:31], v[32:33]
	v_pk_mul_f32 v[74:75], v[72:73], s[0:1] op_sel_hi:[1,0]
	v_pk_add_f32 v[76:77], v[76:77], v[128:129]
	v_pk_add_f32 v[128:129], v[34:35], v[70:71] op_sel:[0,1] op_sel_hi:[1,0]
	v_pk_add_f32 v[34:35], v[34:35], v[70:71] op_sel:[0,1] op_sel_hi:[1,0] neg_lo:[0,1] neg_hi:[0,1]
	v_pk_add_f32 v[28:29], v[28:29], v[46:47]
	v_pk_add_f32 v[34:35], v[34:35], v[74:75] op_sel:[0,1] op_sel_hi:[1,0] neg_lo:[0,1] neg_hi:[0,1]
	v_pk_add_f32 v[70:71], v[128:129], v[74:75] op_sel:[0,1] op_sel_hi:[1,0]
	v_pk_add_f32 v[28:29], v[28:29], v[38:39]
	v_mov_b32_e32 v74, v70
	v_mov_b32_e32 v75, v35
	v_pk_add_f32 v[28:29], v[28:29], v[42:43]
	v_pk_fma_f32 v[74:75], v[76:77], s[12:13], v[74:75] op_sel_hi:[1,0,1]
	ds_write2_b64 v17, v[28:29], v[74:75] offset1:13
	v_pk_add_f32 v[28:29], v[32:33], v[42:43]
	v_mov_b32_e32 v35, v71
	v_pk_fma_f32 v[28:29], v[28:29], 0.5, v[30:31] op_sel_hi:[1,0,1] neg_lo:[1,0,0] neg_hi:[1,0,0]
	v_pk_add_f32 v[30:31], v[46:47], v[32:33] neg_lo:[0,1] neg_hi:[0,1]
	v_pk_add_f32 v[32:33], v[38:39], v[42:43] neg_lo:[0,1] neg_hi:[0,1]
	v_pk_mul_f32 v[38:39], v[68:69], s[0:1] op_sel_hi:[1,0]
	v_pk_add_f32 v[30:31], v[30:31], v[32:33]
	v_pk_mul_f32 v[32:33], v[72:73], s[14:15] op_sel_hi:[1,0]
	v_accvgpr_write_b32 a11, v17
	v_pk_add_f32 v[42:43], v[28:29], v[32:33] op_sel:[0,1] op_sel_hi:[1,0] neg_lo:[0,1] neg_hi:[0,1]
	v_pk_add_f32 v[28:29], v[28:29], v[32:33] op_sel:[0,1] op_sel_hi:[1,0]
	v_pk_add_f32 v[32:33], v[42:43], v[38:39] op_sel:[0,1] op_sel_hi:[1,0]
	v_pk_add_f32 v[28:29], v[28:29], v[38:39] op_sel:[0,1] op_sel_hi:[1,0] neg_lo:[0,1] neg_hi:[0,1]
	v_mov_b32_e32 v38, v32
	v_mov_b32_e32 v39, v29
	;; [unrolled: 1-line block ×3, first 2 shown]
	v_pk_fma_f32 v[38:39], v[30:31], s[12:13], v[38:39] op_sel_hi:[1,0,1]
	v_pk_fma_f32 v[28:29], v[30:31], s[12:13], v[28:29] op_sel_hi:[1,0,1]
	ds_write2_b64 v17, v[38:39], v[28:29] offset0:26 offset1:39
	v_pk_fma_f32 v[28:29], v[76:77], s[12:13], v[34:35] op_sel_hi:[1,0,1]
	ds_write_b64 v17, v[28:29] offset:416
	s_and_saveexec_b64 s[14:15], vcc
	s_cbranch_execz .LBB0_5
; %bb.4:
	v_pk_mul_f32 v[32:33], v[44:45], s[0:1] op_sel:[1,0] op_sel_hi:[0,0]
	v_accvgpr_read_b32 v9, a6
	v_pk_add_f32 v[24:25], v[24:25], v[52:53]
	v_mul_u32_u24_e32 v9, 0x41, v9
	v_accvgpr_read_b32 v11, a7
	v_pk_add_f32 v[24:25], v[24:25], v[58:59]
	v_pk_add_f32 v[38:39], v[62:63], v[32:33]
	v_pk_add_f32 v[32:33], v[60:61], v[32:33] neg_lo:[0,1] neg_hi:[0,1]
	v_pk_mul_f32 v[34:35], v[66:67], s[12:13] op_sel_hi:[1,0]
	v_add_u32_sdwa v9, v9, v11 dst_sel:DWORD dst_unused:UNUSED_PAD src0_sel:DWORD src1_sel:BYTE_0
	v_accvgpr_read_b32 v11, a5
	v_pk_add_f32 v[24:25], v[24:25], v[48:49]
	v_mov_b32_e32 v39, v33
	v_pk_mul_f32 v[28:29], v[54:55], s[0:1] op_sel:[1,0] op_sel_hi:[0,0]
	v_lshl_add_u32 v9, v9, 3, v11
	v_pk_add_f32 v[24:25], v[24:25], v[50:51]
	v_pk_add_f32 v[32:33], v[34:35], v[38:39]
	ds_write2_b64 v9, v[24:25], v[32:33] offset1:13
	v_pk_add_f32 v[24:25], v[40:41], v[28:29]
	v_pk_add_f32 v[28:29], v[36:37], v[28:29] neg_lo:[0,1] neg_hi:[0,1]
	v_pk_mul_f32 v[30:31], v[64:65], s[12:13] op_sel_hi:[1,0]
	v_mov_b32_e32 v25, v29
	v_pk_add_f32 v[24:25], v[30:31], v[24:25]
	ds_write2_b64 v9, v[24:25], v[26:27] offset0:26 offset1:39
	v_accvgpr_read_b32 v25, a9
	v_accvgpr_read_b32 v24, a8
	ds_write_b64 v9, a[8:9] offset:416
.LBB0_5:
	s_or_b64 exec, exec, s[14:15]
	s_movk_i32 s0, 0x60
	v_mov_b64_e32 v[24:25], s[10:11]
	v_mad_u64_u32 v[24:25], s[0:1], v80, s0, v[24:25]
	s_waitcnt lgkmcnt(0)
	s_barrier
	global_load_dwordx4 v[36:39], v[24:25], off offset:464
	global_load_dwordx4 v[40:43], v[24:25], off offset:448
	;; [unrolled: 1-line block ×6, first 2 shown]
	ds_read2_b64 v[52:55], v91 offset1:65
	ds_read2_b64 v[58:61], v91 offset0:130 offset1:195
	v_add_u32_e32 v129, 0x800, v91
	v_add_u32_e32 v131, 0x1000, v91
	ds_read_b64 v[24:25], v91 offset:6240
	ds_read2_b64 v[62:65], v129 offset0:4 offset1:69
	ds_read2_b64 v[66:69], v129 offset0:134 offset1:199
	;; [unrolled: 1-line block ×4, first 2 shown]
	s_waitcnt lgkmcnt(6)
	v_mov_b32_e32 v136, v55
	s_waitcnt lgkmcnt(5)
	v_mov_b32_e32 v138, v59
	v_mov_b32_e32 v140, v61
	s_mov_b32 s18, 0xbeedf032
	s_mov_b32 s19, 0x3f62ad3f
	;; [unrolled: 1-line block ×48, first 2 shown]
	v_accvgpr_write_b32 a4, v80
	v_lshl_add_u64 v[56:57], s[8:9], 0, v[56:57]
	s_mov_b32 s8, s17
	v_mov_b32_e32 v21, v20
	v_mov_b32_e32 v23, v22
	v_mov_b32_e32 v119, v118
	v_mov_b32_e32 v17, v16
	v_mov_b32_e32 v19, v18
	v_mov_b32_e32 v111, v110
	v_mov_b32_e32 v13, v12
	v_mov_b32_e32 v15, v14
	v_mov_b32_e32 v121, v120
	v_mov_b32_e32 v113, v112
	s_waitcnt vmcnt(5)
	v_mov_b32_e32 v128, v39
	s_waitcnt vmcnt(4)
	v_mov_b32_e32 v132, v43
	s_waitcnt vmcnt(3)
	v_pk_mul_f32 v[146:147], v[60:61], v[28:29]
	s_waitcnt vmcnt(2)
	v_pk_mul_f32 v[142:143], v[54:55], v[32:33]
	v_pk_mul_f32 v[144:145], v[58:59], v[34:35]
	v_mov_b32_e32 v142, v33
	v_mov_b32_e32 v144, v35
	;; [unrolled: 1-line block ×3, first 2 shown]
	s_waitcnt vmcnt(1)
	v_mov_b32_e32 v126, v47
	s_waitcnt lgkmcnt(0)
	v_pk_mul_f32 v[154:155], v[76:77], v[44:45] op_sel:[0,1]
	v_mov_b32_e32 v156, v143
	v_pk_mul_f32 v[142:143], v[54:55], v[142:143]
	v_mov_b32_e32 v158, v145
	v_pk_mul_f32 v[144:145], v[58:59], v[144:145]
	;; [unrolled: 2-line block ×3, first 2 shown]
	v_pk_fma_f32 v[170:171], v[76:77], v[44:45], v[154:155] op_sel:[0,0,1] op_sel_hi:[1,0,0] neg_lo:[0,0,1] neg_hi:[0,0,1]
	v_pk_fma_f32 v[76:77], v[76:77], v[44:45], v[154:155] op_sel:[0,0,1] op_sel_hi:[1,0,0]
	v_pk_mul_f32 v[154:155], v[24:25], v[126:127] op_sel_hi:[1,0]
	v_pk_fma_f32 v[156:157], v[54:55], v[32:33], v[156:157] neg_lo:[0,0,1] neg_hi:[0,0,1]
	v_pk_fma_f32 v[54:55], v[136:137], v[32:33], v[142:143]
	v_mov_b32_e32 v134, v31
	s_waitcnt vmcnt(0)
	v_mov_b32_e32 v130, v51
	v_pk_mul_f32 v[152:153], v[72:73], v[48:49] op_sel:[0,1]
	v_pk_fma_f32 v[136:137], v[138:139], v[34:35], v[144:145]
	v_pk_fma_f32 v[138:139], v[140:141], v[28:29], v[146:147]
	v_pk_fma_f32 v[146:147], v[24:25], v[46:47], v[154:155] op_sel:[0,0,1] op_sel_hi:[1,0,0]
	v_mov_b32_e32 v9, v54
	v_pk_mul_f32 v[148:149], v[64:65], v[40:41] op_sel:[0,1]
	v_pk_mul_f32 v[150:151], v[68:69], v[36:37] op_sel:[0,1]
	v_pk_mul_f32 v[162:163], v[62:63], v[134:135] op_sel_hi:[1,0]
	v_pk_fma_f32 v[168:169], v[72:73], v[48:49], v[152:153] op_sel:[0,0,1] op_sel_hi:[1,1,0] neg_lo:[0,0,1] neg_hi:[0,0,1]
	v_pk_fma_f32 v[72:73], v[72:73], v[48:49], v[152:153] op_sel:[0,0,1] op_sel_hi:[1,0,0]
	v_pk_mul_f32 v[152:153], v[74:75], v[130:131] op_sel_hi:[1,0]
	v_pk_fma_f32 v[144:145], v[24:25], v[46:47], v[154:155] op_sel:[0,0,1] op_sel_hi:[1,0,0] neg_lo:[0,0,1] neg_hi:[0,0,1]
	v_pk_add_f32 v[24:25], v[8:9], v[146:147]
	v_pk_fma_f32 v[164:165], v[64:65], v[40:41], v[148:149] op_sel:[0,0,1] op_sel_hi:[1,1,0] neg_lo:[0,0,1] neg_hi:[0,0,1]
	v_pk_fma_f32 v[64:65], v[64:65], v[40:41], v[148:149] op_sel:[0,0,1] op_sel_hi:[1,0,0]
	v_pk_mul_f32 v[148:149], v[66:67], v[132:133] op_sel_hi:[1,0]
	v_pk_fma_f32 v[166:167], v[68:69], v[36:37], v[150:151] op_sel:[0,0,1] op_sel_hi:[1,1,0] neg_lo:[0,0,1] neg_hi:[0,0,1]
	v_pk_fma_f32 v[68:69], v[68:69], v[36:37], v[150:151] op_sel:[0,0,1] op_sel_hi:[1,0,0]
	v_pk_mul_f32 v[150:151], v[70:71], v[128:129] op_sel_hi:[1,0]
	v_pk_fma_f32 v[60:61], v[60:61], v[28:29], v[160:161] neg_lo:[0,0,1] neg_hi:[0,0,1]
	v_pk_fma_f32 v[140:141], v[62:63], v[30:31], v[162:163] op_sel:[0,0,1] op_sel_hi:[1,1,0] neg_lo:[0,0,1] neg_hi:[0,0,1]
	v_pk_fma_f32 v[62:63], v[62:63], v[30:31], v[162:163] op_sel:[0,0,1] op_sel_hi:[1,0,0]
	v_mov_b32_e32 v169, v73
	v_pk_fma_f32 v[72:73], v[74:75], v[50:51], v[152:153] op_sel:[0,0,1] op_sel_hi:[1,0,0] neg_lo:[0,0,1] neg_hi:[0,0,1]
	v_mov_b32_e32 v24, v147
	v_mov_b32_e32 v11, v136
	v_pk_fma_f32 v[58:59], v[58:59], v[34:35], v[158:159] neg_lo:[0,0,1] neg_hi:[0,0,1]
	v_mov_b32_e32 v165, v65
	v_pk_fma_f32 v[64:65], v[66:67], v[42:43], v[148:149] op_sel:[0,0,1] op_sel_hi:[1,1,0] neg_lo:[0,0,1] neg_hi:[0,0,1]
	v_pk_fma_f32 v[66:67], v[66:67], v[42:43], v[148:149] op_sel:[0,0,1] op_sel_hi:[1,0,0]
	v_mov_b32_e32 v167, v69
	v_pk_fma_f32 v[68:69], v[70:71], v[38:39], v[150:151] op_sel:[0,0,1] op_sel_hi:[1,1,0] neg_lo:[0,0,1] neg_hi:[0,0,1]
	v_pk_fma_f32 v[70:71], v[70:71], v[38:39], v[150:151] op_sel:[0,0,1] op_sel_hi:[1,0,0]
	v_mov_b32_e32 v143, v77
	v_mov_b32_e32 v62, v72
	;; [unrolled: 1-line block ×3, first 2 shown]
	v_pk_add_f32 v[176:177], v[54:55], v[24:25] neg_lo:[0,1] neg_hi:[0,1]
	v_pk_add_f32 v[54:55], v[10:11], v[76:77]
	v_mov_b32_e32 v24, v77
	v_pk_add_f32 v[158:159], v[60:61], v[72:73]
	v_pk_add_f32 v[72:73], v[60:61], v[72:73] neg_lo:[0,1] neg_hi:[0,1]
	v_pk_add_f32 v[60:61], v[52:53], v[156:157]
	v_pk_add_f32 v[76:77], v[52:53], v[8:9]
	v_mov_b32_e32 v69, v71
	v_mov_b32_e32 v70, v58
	v_mov_b32_e32 v71, v136
	v_mov_b32_e32 v61, v77
	v_mov_b32_e32 v149, v138
	v_pk_add_f32 v[60:61], v[60:61], v[70:71]
	v_mov_b32_e32 v141, v63
	v_pk_add_f32 v[60:61], v[60:61], v[148:149]
	v_mov_b32_e32 v65, v67
	v_pk_add_f32 v[60:61], v[60:61], v[140:141]
	v_pk_fma_f32 v[74:75], v[74:75], v[50:51], v[152:153] op_sel:[0,0,1] op_sel_hi:[1,0,0]
	v_pk_add_f32 v[60:61], v[60:61], v[164:165]
	v_mov_b32_e32 v63, v75
	v_pk_add_f32 v[60:61], v[60:61], v[64:65]
	v_mov_b32_e32 v66, v144
	v_pk_add_f32 v[60:61], v[60:61], v[166:167]
	v_pk_add_f32 v[172:173], v[156:157], v[144:145]
	;; [unrolled: 1-line block ×3, first 2 shown]
	v_pk_add_f32 v[144:145], v[156:157], v[144:145] neg_lo:[0,1] neg_hi:[0,1]
	v_pk_add_f32 v[60:61], v[60:61], v[168:169]
	v_mov_b32_e32 v142, v170
	v_pk_add_f32 v[178:179], v[136:137], v[24:25] neg_lo:[0,1] neg_hi:[0,1]
	v_mov_b32_e32 v24, v75
	v_pk_add_f32 v[60:61], v[60:61], v[62:63]
	v_mov_b32_e32 v173, v144
	v_mov_b32_e32 v67, v147
	v_pk_add_f32 v[174:175], v[58:59], v[170:171]
	v_pk_add_f32 v[146:147], v[58:59], v[170:171] neg_lo:[0,1] neg_hi:[0,1]
	v_pk_add_f32 v[162:163], v[138:139], v[24:25] neg_lo:[0,1] neg_hi:[0,1]
	v_pk_add_f32 v[60:61], v[60:61], v[142:143]
	v_mov_b32_e32 v24, v176
	v_pk_mul_f32 v[62:63], v[172:173], s[54:55]
	v_pk_add_f32 v[150:151], v[64:65], v[166:167]
	v_pk_add_f32 v[152:153], v[64:65], v[166:167] neg_lo:[0,1] neg_hi:[0,1]
	v_pk_add_f32 v[148:149], v[60:61], v[66:67]
	v_pk_fma_f32 v[64:65], v[176:177], s[18:19], v[62:63] neg_lo:[1,0,0] neg_hi:[1,0,0]
	v_pk_fma_f32 v[60:61], v[24:25], s[18:19], v[62:63]
	v_mov_b32_e32 v175, v146
	v_mov_b32_e32 v65, v61
	;; [unrolled: 1-line block ×3, first 2 shown]
	v_pk_mul_f32 v[66:67], v[174:175], s[26:27]
	v_mov_b32_e32 v11, v138
	v_pk_add_f32 v[154:155], v[164:165], v[68:69]
	v_pk_add_f32 v[138:139], v[164:165], v[68:69] neg_lo:[0,1] neg_hi:[0,1]
	v_pk_add_f32 v[68:69], v[52:53], v[64:65]
	v_pk_fma_f32 v[70:71], v[178:179], s[14:15], v[66:67] neg_lo:[1,0,0] neg_hi:[1,0,0]
	v_pk_fma_f32 v[64:65], v[54:55], s[14:15], v[66:67]
	v_pk_add_f32 v[58:59], v[10:11], v[74:75]
	v_mov_b32_e32 v71, v65
	v_mov_b32_e32 v159, v72
	v_pk_add_f32 v[76:77], v[70:71], v[68:69]
	v_mov_b32_e32 v58, v162
	v_pk_mul_f32 v[70:71], v[158:159], s[52:53]
	v_pk_add_f32 v[160:161], v[140:141], v[168:169]
	v_pk_fma_f32 v[72:73], v[162:163], s[22:23], v[70:71] neg_lo:[1,0,0] neg_hi:[1,0,0]
	v_pk_fma_f32 v[68:69], v[58:59], s[22:23], v[70:71]
	v_pk_add_f32 v[74:75], v[140:141], v[168:169] neg_lo:[0,1] neg_hi:[0,1]
	v_mov_b32_e32 v73, v69
	v_pk_add_f32 v[136:137], v[72:73], v[76:77]
	v_mov_b32_e32 v73, v161
	v_mov_b32_e32 v161, v74
	v_mov_b32_e32 v72, v75
	v_pk_mul_f32 v[76:77], v[160:161], s[40:41]
	v_pk_mul_f32 v[164:165], v[172:173], s[26:27]
	v_pk_fma_f32 v[140:141], v[72:73], s[10:11], v[76:77] neg_lo:[1,0,0] neg_hi:[1,0,0]
	v_pk_fma_f32 v[74:75], v[72:73], s[10:11], v[76:77]
	v_pk_fma_f32 v[180:181], v[176:177], s[14:15], v[164:165] neg_lo:[1,0,0] neg_hi:[1,0,0]
	v_mov_b32_e32 v141, v75
	v_pk_add_f32 v[142:143], v[140:141], v[136:137]
	v_mov_b32_e32 v137, v155
	v_mov_b32_e32 v155, v138
	v_mov_b32_e32 v136, v139
	v_pk_mul_f32 v[140:141], v[154:155], s[30:31]
	v_pk_mul_f32 v[166:167], v[174:175], s[40:41]
	v_pk_fma_f32 v[144:145], v[136:137], s[12:13], v[140:141] neg_lo:[1,0,0] neg_hi:[1,0,0]
	v_pk_fma_f32 v[138:139], v[136:137], s[12:13], v[140:141]
	v_pk_fma_f32 v[182:183], v[178:179], s[10:11], v[166:167] neg_lo:[1,0,0] neg_hi:[1,0,0]
	;; [unrolled: 10-line block ×3, first 2 shown]
	v_mov_b32_e32 v153, v145
	v_pk_add_f32 v[152:153], v[152:153], v[156:157]
	ds_write2_b64 v91, v[148:149], v[152:153] offset1:65
	v_pk_fma_f32 v[148:149], v[24:25], s[14:15], v[164:165]
	v_pk_fma_f32 v[152:153], v[54:55], s[10:11], v[166:167]
	v_mov_b32_e32 v181, v149
	v_mov_b32_e32 v183, v153
	v_pk_fma_f32 v[156:157], v[58:59], s[16:17], v[168:169]
	v_pk_add_f32 v[180:181], v[52:53], v[180:181]
	v_mov_b32_e32 v185, v157
	v_pk_mul_f32 v[170:171], v[160:161], s[46:47]
	v_pk_add_f32 v[180:181], v[182:183], v[180:181]
	v_pk_fma_f32 v[182:183], v[72:73], s[28:29], v[170:171] neg_lo:[1,0,0] neg_hi:[1,0,0]
	v_pk_add_f32 v[184:185], v[184:185], v[180:181]
	v_pk_fma_f32 v[180:181], v[72:73], s[28:29], v[170:171]
	v_pk_mul_f32 v[194:195], v[172:173], s[52:53]
	v_mov_b32_e32 v183, v181
	v_pk_add_f32 v[186:187], v[182:183], v[184:185]
	v_pk_mul_f32 v[184:185], v[154:155], s[48:49]
	v_pk_fma_f32 v[198:199], v[176:177], s[22:23], v[194:195] neg_lo:[1,0,0] neg_hi:[1,0,0]
	v_pk_fma_f32 v[188:189], v[136:137], s[20:21], v[184:185] neg_lo:[1,0,0] neg_hi:[1,0,0]
	v_pk_fma_f32 v[182:183], v[136:137], s[20:21], v[184:185]
	v_pk_mul_f32 v[196:197], v[174:175], s[44:45]
	v_mov_b32_e32 v189, v183
	v_pk_add_f32 v[190:191], v[188:189], v[186:187]
	v_pk_mul_f32 v[188:189], v[150:151], s[42:43]
	v_pk_fma_f32 v[200:201], v[178:179], s[16:17], v[196:197] neg_lo:[1,0,0] neg_hi:[1,0,0]
	v_pk_fma_f32 v[192:193], v[142:143], s[24:25], v[188:189] neg_lo:[1,0,0] neg_hi:[1,0,0]
	v_pk_fma_f32 v[186:187], v[142:143], s[24:25], v[188:189]
	v_pk_mul_f32 v[206:207], v[158:159], s[50:51]
	v_mov_b32_e32 v193, v187
	v_pk_add_f32 v[218:219], v[192:193], v[190:191]
	v_pk_fma_f32 v[190:191], v[24:25], s[22:23], v[194:195]
	v_pk_fma_f32 v[192:193], v[54:55], s[16:17], v[196:197]
	v_mov_b32_e32 v199, v191
	v_mov_b32_e32 v201, v193
	v_pk_add_f32 v[198:199], v[52:53], v[198:199]
	v_pk_fma_f32 v[202:203], v[162:163], s[36:37], v[206:207] neg_lo:[1,0,0] neg_hi:[1,0,0]
	v_pk_add_f32 v[200:201], v[200:201], v[198:199]
	v_pk_fma_f32 v[198:199], v[58:59], s[36:37], v[206:207]
	v_pk_mul_f32 v[208:209], v[160:161], s[42:43]
	v_mov_b32_e32 v203, v199
	v_pk_add_f32 v[202:203], v[202:203], v[200:201]
	v_pk_fma_f32 v[204:205], v[72:73], s[24:25], v[208:209] neg_lo:[1,0,0] neg_hi:[1,0,0]
	v_pk_fma_f32 v[200:201], v[72:73], s[24:25], v[208:209]
	v_pk_mul_f32 v[210:211], v[154:155], s[26:27]
	v_mov_b32_e32 v205, v201
	v_pk_add_f32 v[204:205], v[204:205], v[202:203]
	v_pk_fma_f32 v[212:213], v[136:137], s[14:15], v[210:211] neg_lo:[1,0,0] neg_hi:[1,0,0]
	v_pk_fma_f32 v[202:203], v[136:137], s[14:15], v[210:211]
	v_pk_mul_f32 v[224:225], v[174:175], s[46:47]
	v_mov_b32_e32 v213, v203
	v_pk_add_f32 v[220:221], v[212:213], v[204:205]
	v_pk_mul_f32 v[212:213], v[150:151], s[30:31]
	v_pk_fma_f32 v[226:227], v[178:179], s[28:29], v[224:225] neg_lo:[1,0,0] neg_hi:[1,0,0]
	v_pk_fma_f32 v[222:223], v[142:143], s[12:13], v[212:213] neg_lo:[1,0,0] neg_hi:[1,0,0]
	v_pk_fma_f32 v[204:205], v[142:143], s[12:13], v[212:213]
	v_pk_fma_f32 v[228:229], v[54:55], s[28:29], v[224:225]
	v_mov_b32_e32 v223, v205
	v_pk_add_f32 v[220:221], v[222:223], v[220:221]
	ds_write2_b64 v91, v[218:219], v[220:221] offset0:130 offset1:195
	v_pk_mul_f32 v[218:219], v[172:173], s[40:41]
	v_mov_b32_e32 v227, v229
	v_pk_fma_f32 v[220:221], v[176:177], s[10:11], v[218:219] neg_lo:[1,0,0] neg_hi:[1,0,0]
	v_pk_fma_f32 v[222:223], v[24:25], s[10:11], v[218:219]
	v_pk_mul_f32 v[250:251], v[174:175], s[48:49]
	v_mov_b32_e32 v221, v223
	v_pk_add_f32 v[220:221], v[52:53], v[220:221]
	v_pk_fma_f32 v[252:253], v[178:179], s[20:21], v[250:251] neg_lo:[1,0,0] neg_hi:[1,0,0]
	v_pk_add_f32 v[220:221], v[226:227], v[220:221]
	v_pk_mul_f32 v[226:227], v[158:159], s[42:43]
	v_pk_fma_f32 v[254:255], v[54:55], s[20:21], v[250:251]
	v_pk_fma_f32 v[230:231], v[162:163], s[24:25], v[226:227] neg_lo:[1,0,0] neg_hi:[1,0,0]
	v_pk_fma_f32 v[232:233], v[58:59], s[24:25], v[226:227]
	v_mov_b32_e32 v253, v255
	v_mov_b32_e32 v231, v233
	v_pk_add_f32 v[220:221], v[230:231], v[220:221]
	v_pk_mul_f32 v[230:231], v[160:161], s[52:53]
	v_pk_mul_f32 v[174:175], v[174:175], s[42:43]
	v_pk_fma_f32 v[234:235], v[72:73], s[22:23], v[230:231] neg_lo:[1,0,0] neg_hi:[1,0,0]
	v_pk_fma_f32 v[236:237], v[72:73], s[22:23], v[230:231]
	v_add_u32_e32 v31, 0xc00, v91
	v_mov_b32_e32 v235, v237
	v_pk_add_f32 v[220:221], v[234:235], v[220:221]
	v_pk_mul_f32 v[234:235], v[154:155], s[0:1]
	v_mov_b32_e32 v11, v10
	v_pk_fma_f32 v[238:239], v[136:137], s[38:39], v[234:235] neg_lo:[1,0,0] neg_hi:[1,0,0]
	v_pk_fma_f32 v[240:241], v[136:137], s[38:39], v[234:235]
	s_nop 0
	v_mov_b32_e32 v239, v241
	v_pk_add_f32 v[220:221], v[238:239], v[220:221]
	v_pk_mul_f32 v[238:239], v[150:151], s[56:57]
	s_nop 0
	v_pk_fma_f32 v[242:243], v[142:143], s[34:35], v[238:239] neg_lo:[1,0,0] neg_hi:[1,0,0]
	v_pk_fma_f32 v[244:245], v[142:143], s[34:35], v[238:239]
	s_nop 0
	v_mov_b32_e32 v243, v245
	v_pk_add_f32 v[220:221], v[242:243], v[220:221]
	v_pk_mul_f32 v[242:243], v[172:173], s[30:31]
	s_nop 0
	v_pk_fma_f32 v[246:247], v[176:177], s[12:13], v[242:243] neg_lo:[1,0,0] neg_hi:[1,0,0]
	v_pk_fma_f32 v[248:249], v[24:25], s[12:13], v[242:243]
	s_nop 0
	v_mov_b32_e32 v247, v249
	v_pk_add_f32 v[246:247], v[52:53], v[246:247]
	s_nop 0
	v_pk_add_f32 v[246:247], v[252:253], v[246:247]
	v_pk_mul_f32 v[252:253], v[158:159], s[26:27]
	v_pk_mul_f32 v[158:159], v[158:159], s[30:31]
	v_pk_fma_f32 v[214:215], v[162:163], s[14:15], v[252:253] neg_lo:[1,0,0] neg_hi:[1,0,0]
	v_pk_fma_f32 v[108:109], v[58:59], s[14:15], v[252:253]
	v_pk_fma_f32 v[162:163], v[162:163], s[12:13], v[158:159] neg_lo:[1,0,0] neg_hi:[1,0,0]
	v_mov_b32_e32 v215, v109
	v_pk_add_f32 v[214:215], v[214:215], v[246:247]
	v_pk_mul_f32 v[246:247], v[160:161], s[0:1]
	v_pk_mul_f32 v[160:161], v[160:161], s[56:57]
	v_pk_fma_f32 v[216:217], v[72:73], s[38:39], v[246:247] neg_lo:[1,0,0] neg_hi:[1,0,0]
	v_pk_fma_f32 v[94:95], v[72:73], s[38:39], v[246:247]
	s_movk_i32 s0, 0x1000
	v_mov_b32_e32 v217, v95
	v_pk_add_f32 v[214:215], v[216:217], v[214:215]
	v_pk_mul_f32 v[216:217], v[154:155], s[42:43]
	v_pk_mul_f32 v[154:155], v[154:155], s[40:41]
	v_pk_fma_f32 v[114:115], v[136:137], s[24:25], v[216:217] neg_lo:[1,0,0] neg_hi:[1,0,0]
	v_pk_fma_f32 v[116:117], v[136:137], s[24:25], v[216:217]
	v_pk_fma_f32 v[78:79], v[136:137], s[10:11], v[154:155]
	v_mov_b32_e32 v115, v117
	v_pk_add_f32 v[114:115], v[114:115], v[214:215]
	v_pk_mul_f32 v[214:215], v[150:151], s[40:41]
	v_pk_mul_f32 v[150:151], v[150:151], s[48:49]
	v_pk_fma_f32 v[122:123], v[142:143], s[10:11], v[214:215] neg_lo:[1,0,0] neg_hi:[1,0,0]
	v_pk_fma_f32 v[124:125], v[142:143], s[10:11], v[214:215]
	v_pk_fma_f32 v[80:81], v[142:143], s[20:21], v[150:151]
	v_mov_b32_e32 v123, v125
	v_pk_add_f32 v[114:115], v[122:123], v[114:115]
	ds_write2_b64 v129, v[220:221], v[114:115] offset0:4 offset1:69
	v_pk_mul_f32 v[114:115], v[172:173], s[44:45]
	v_pk_fma_f32 v[220:221], v[72:73], s[34:35], v[160:161]
	v_pk_fma_f32 v[122:123], v[176:177], s[16:17], v[114:115] neg_lo:[1,0,0] neg_hi:[1,0,0]
	v_pk_fma_f32 v[172:173], v[24:25], s[16:17], v[114:115]
	v_pk_fma_f32 v[176:177], v[178:179], s[24:25], v[174:175] neg_lo:[1,0,0] neg_hi:[1,0,0]
	v_mov_b32_e32 v123, v173
	v_pk_fma_f32 v[178:179], v[54:55], s[24:25], v[174:175]
	v_pk_add_f32 v[122:123], v[52:53], v[122:123]
	v_mov_b32_e32 v177, v179
	v_pk_add_f32 v[122:123], v[176:177], v[122:123]
	v_pk_fma_f32 v[176:177], v[58:59], s[12:13], v[158:159]
	v_pk_fma_f32 v[114:115], v[24:25], s[16:17], v[114:115] neg_lo:[0,0,1] neg_hi:[0,0,1]
	v_mov_b32_e32 v163, v177
	v_pk_add_f32 v[122:123], v[162:163], v[122:123]
	v_pk_fma_f32 v[162:163], v[72:73], s[34:35], v[160:161] neg_lo:[1,0,0] neg_hi:[1,0,0]
	v_mov_b32_e32 v173, v115
	v_pk_fma_f32 v[114:115], v[54:55], s[24:25], v[174:175] neg_lo:[0,0,1] neg_hi:[0,0,1]
	v_mov_b32_e32 v163, v221
	v_mov_b32_e32 v179, v115
	v_pk_fma_f32 v[114:115], v[58:59], s[12:13], v[158:159] neg_lo:[0,0,1] neg_hi:[0,0,1]
	v_pk_add_f32 v[122:123], v[162:163], v[122:123]
	v_pk_fma_f32 v[162:163], v[136:137], s[10:11], v[154:155] neg_lo:[1,0,0] neg_hi:[1,0,0]
	v_mov_b32_e32 v177, v115
	v_pk_fma_f32 v[114:115], v[72:73], s[34:35], v[160:161] neg_lo:[0,0,1] neg_hi:[0,0,1]
	v_mov_b32_e32 v163, v79
	v_mov_b32_e32 v221, v115
	v_pk_fma_f32 v[114:115], v[136:137], s[10:11], v[154:155] neg_lo:[0,0,1] neg_hi:[0,0,1]
	v_pk_add_f32 v[122:123], v[162:163], v[122:123]
	v_pk_fma_f32 v[162:163], v[142:143], s[20:21], v[150:151] neg_lo:[1,0,0] neg_hi:[1,0,0]
	v_mov_b32_e32 v79, v115
	v_pk_fma_f32 v[114:115], v[142:143], s[20:21], v[150:151] neg_lo:[0,0,1] neg_hi:[0,0,1]
	v_mov_b32_e32 v163, v81
	v_mov_b32_e32 v81, v115
	v_pk_add_f32 v[114:115], v[52:53], v[172:173]
	v_pk_add_f32 v[122:123], v[162:163], v[122:123]
	;; [unrolled: 1-line block ×3, first 2 shown]
	s_nop 0
	v_pk_add_f32 v[114:115], v[176:177], v[114:115]
	s_nop 0
	v_pk_add_f32 v[114:115], v[220:221], v[114:115]
	;; [unrolled: 2-line block ×4, first 2 shown]
	ds_write2_b64 v129, v[122:123], v[78:79] offset0:134 offset1:199
	v_pk_fma_f32 v[78:79], v[24:25], s[12:13], v[242:243] neg_lo:[0,0,1] neg_hi:[0,0,1]
	v_pk_fma_f32 v[80:81], v[24:25], s[10:11], v[218:219] neg_lo:[0,0,1] neg_hi:[0,0,1]
	v_mov_b32_e32 v249, v79
	v_pk_fma_f32 v[78:79], v[54:55], s[20:21], v[250:251] neg_lo:[0,0,1] neg_hi:[0,0,1]
	v_mov_b32_e32 v223, v81
	;; [unrolled: 2-line block ×11, first 2 shown]
	v_pk_add_f32 v[78:79], v[52:53], v[248:249]
	v_mov_b32_e32 v245, v81
	v_pk_add_f32 v[80:81], v[52:53], v[222:223]
	v_pk_add_f32 v[78:79], v[254:255], v[78:79]
	;; [unrolled: 1-line block ×11, first 2 shown]
	ds_write2_b64 v131, v[78:79], v[80:81] offset0:8 offset1:73
	v_pk_fma_f32 v[78:79], v[24:25], s[22:23], v[194:195] neg_lo:[0,0,1] neg_hi:[0,0,1]
	v_pk_fma_f32 v[80:81], v[24:25], s[14:15], v[164:165] neg_lo:[0,0,1] neg_hi:[0,0,1]
	v_mov_b32_e32 v191, v79
	v_pk_fma_f32 v[78:79], v[54:55], s[16:17], v[196:197] neg_lo:[0,0,1] neg_hi:[0,0,1]
	v_mov_b32_e32 v149, v81
	;; [unrolled: 2-line block ×8, first 2 shown]
	v_pk_fma_f32 v[80:81], v[136:137], s[20:21], v[184:185] neg_lo:[0,0,1] neg_hi:[0,0,1]
	v_pk_fma_f32 v[24:25], v[24:25], s[18:19], v[62:63] neg_lo:[0,0,1] neg_hi:[0,0,1]
	v_mov_b32_e32 v203, v79
	v_pk_fma_f32 v[78:79], v[142:143], s[12:13], v[212:213] neg_lo:[0,0,1] neg_hi:[0,0,1]
	v_mov_b32_e32 v183, v81
	;; [unrolled: 2-line block ×3, first 2 shown]
	v_mov_b32_e32 v205, v79
	v_pk_add_f32 v[78:79], v[52:53], v[190:191]
	v_mov_b32_e32 v187, v81
	v_pk_add_f32 v[80:81], v[52:53], v[148:149]
	v_pk_add_f32 v[24:25], v[52:53], v[60:61]
	v_pk_fma_f32 v[52:53], v[54:55], s[14:15], v[66:67] neg_lo:[0,0,1] neg_hi:[0,0,1]
	v_pk_add_f32 v[78:79], v[192:193], v[78:79]
	v_mov_b32_e32 v65, v53
	v_pk_fma_f32 v[52:53], v[58:59], s[22:23], v[70:71] neg_lo:[0,0,1] neg_hi:[0,0,1]
	v_pk_add_f32 v[24:25], v[64:65], v[24:25]
	v_mov_b32_e32 v69, v53
	;; [unrolled: 3-line block ×3, first 2 shown]
	v_pk_fma_f32 v[52:53], v[136:137], s[12:13], v[140:141] neg_lo:[0,0,1] neg_hi:[0,0,1]
	v_pk_add_f32 v[80:81], v[152:153], v[80:81]
	v_pk_add_f32 v[24:25], v[74:75], v[24:25]
	v_mov_b32_e32 v139, v53
	v_pk_fma_f32 v[52:53], v[142:143], s[16:17], v[146:147] neg_lo:[0,0,1] neg_hi:[0,0,1]
	v_pk_add_f32 v[78:79], v[198:199], v[78:79]
	v_pk_add_f32 v[80:81], v[156:157], v[80:81]
	;; [unrolled: 1-line block ×3, first 2 shown]
	v_mov_b32_e32 v145, v53
	v_pk_add_f32 v[78:79], v[200:201], v[78:79]
	v_pk_add_f32 v[80:81], v[180:181], v[80:81]
	;; [unrolled: 1-line block ×5, first 2 shown]
	ds_write_b64 v91, v[24:25] offset:6240
	v_add_co_u32_e64 v24, s[0:1], s0, v56
	v_pk_add_f32 v[78:79], v[204:205], v[78:79]
	v_pk_add_f32 v[80:81], v[186:187], v[80:81]
	v_addc_co_u32_e64 v25, s[0:1], 0, v57, s[0:1]
	ds_write2_b64 v131, v[78:79], v[80:81] offset0:138 offset1:203
	s_waitcnt lgkmcnt(0)
	s_barrier
	global_load_dwordx2 v[24:25], v[24:25], off offset:2664
	s_mov_b64 s[0:1], 0x1a68
	v_lshl_add_u64 v[52:53], v[56:57], 0, s[0:1]
	global_load_dwordx2 v[60:61], v[52:53], off offset:520
	global_load_dwordx2 v[62:63], v[52:53], off offset:1040
	;; [unrolled: 1-line block ×7, first 2 shown]
	s_movk_i32 s0, 0x2000
	v_add_co_u32_e64 v52, s[0:1], s0, v56
	s_nop 1
	v_addc_co_u32_e64 v53, s[0:1], 0, v57, s[0:1]
	global_load_dwordx2 v[74:75], v[52:53], off offset:2728
	global_load_dwordx2 v[76:77], v[52:53], off offset:3248
	;; [unrolled: 1-line block ×3, first 2 shown]
	s_movk_i32 s0, 0x3000
	v_add_co_u32_e64 v52, s[0:1], s0, v56
	s_nop 1
	v_addc_co_u32_e64 v53, s[0:1], 0, v57, s[0:1]
	global_load_dwordx2 v[80:81], v[52:53], off offset:192
	global_load_dwordx2 v[94:95], v[52:53], off offset:712
	ds_read2_b64 v[52:55], v91 offset1:65
	ds_read2_b64 v[56:59], v91 offset0:130 offset1:195
	s_mov_b32 s0, s23
	s_waitcnt vmcnt(12) lgkmcnt(1)
	v_mul_f32_e32 v9, v53, v25
	v_fma_f32 v108, v52, v24, -v9
	v_mul_f32_e32 v109, v52, v25
	s_waitcnt vmcnt(11)
	v_mul_f32_e32 v9, v55, v61
	v_mul_f32_e32 v25, v54, v61
	v_fmac_f32_e32 v109, v53, v24
	v_fma_f32 v24, v54, v60, -v9
	v_fmac_f32_e32 v25, v55, v60
	ds_read2_b64 v[52:55], v129 offset0:4 offset1:69
	ds_write2_b64 v91, v[108:109], v[24:25] offset1:65
	s_waitcnt vmcnt(10) lgkmcnt(2)
	v_mul_f32_e32 v9, v57, v63
	v_mul_f32_e32 v25, v56, v63
	v_fma_f32 v24, v56, v62, -v9
	v_fmac_f32_e32 v25, v57, v62
	s_waitcnt vmcnt(9)
	v_mul_f32_e32 v9, v59, v65
	v_mul_f32_e32 v57, v58, v65
	v_fma_f32 v56, v58, v64, -v9
	v_fmac_f32_e32 v57, v59, v64
	ds_write2_b64 v91, v[24:25], v[56:57] offset0:130 offset1:195
	s_waitcnt vmcnt(8) lgkmcnt(2)
	v_mul_f32_e32 v9, v53, v67
	v_mul_f32_e32 v25, v52, v67
	ds_read2_b64 v[56:59], v129 offset0:134 offset1:199
	v_fma_f32 v24, v52, v66, -v9
	v_fmac_f32_e32 v25, v53, v66
	s_waitcnt vmcnt(7)
	v_mul_f32_e32 v9, v55, v69
	v_mul_f32_e32 v53, v54, v69
	v_fma_f32 v52, v54, v68, -v9
	v_fmac_f32_e32 v53, v55, v68
	ds_write2_b64 v129, v[24:25], v[52:53] offset0:4 offset1:69
	ds_read2_b64 v[52:55], v131 offset0:8 offset1:73
	s_waitcnt vmcnt(6) lgkmcnt(2)
	v_mul_f32_e32 v9, v57, v71
	v_mul_f32_e32 v25, v56, v71
	v_fma_f32 v24, v56, v70, -v9
	v_fmac_f32_e32 v25, v57, v70
	s_waitcnt vmcnt(5)
	v_mul_f32_e32 v9, v59, v73
	v_mul_f32_e32 v57, v58, v73
	v_fma_f32 v56, v58, v72, -v9
	v_fmac_f32_e32 v57, v59, v72
	ds_write2_b64 v129, v[24:25], v[56:57] offset0:134 offset1:199
	s_waitcnt vmcnt(4) lgkmcnt(1)
	v_mul_f32_e32 v9, v53, v75
	v_mul_f32_e32 v25, v52, v75
	ds_read2_b64 v[56:59], v131 offset0:138 offset1:203
	v_fma_f32 v24, v52, v74, -v9
	v_fmac_f32_e32 v25, v53, v74
	s_waitcnt vmcnt(3)
	v_mul_f32_e32 v9, v55, v77
	v_mul_f32_e32 v53, v54, v77
	v_fma_f32 v52, v54, v76, -v9
	v_fmac_f32_e32 v53, v55, v76
	ds_write2_b64 v131, v[24:25], v[52:53] offset0:8 offset1:73
	ds_read_b64 v[52:53], v91 offset:6240
	s_waitcnt vmcnt(2) lgkmcnt(2)
	v_mul_f32_e32 v9, v57, v79
	v_fma_f32 v24, v56, v78, -v9
	v_mul_f32_e32 v25, v56, v79
	s_waitcnt vmcnt(1)
	v_mul_f32_e32 v9, v59, v81
	v_mul_f32_e32 v55, v58, v81
	v_fmac_f32_e32 v25, v57, v78
	v_fma_f32 v54, v58, v80, -v9
	v_fmac_f32_e32 v55, v59, v80
	ds_write2_b64 v131, v[24:25], v[54:55] offset0:138 offset1:203
	s_waitcnt vmcnt(0) lgkmcnt(1)
	v_mul_f32_e32 v9, v53, v95
	v_mul_f32_e32 v25, v52, v95
	v_fma_f32 v24, v52, v94, -v9
	v_fmac_f32_e32 v25, v53, v94
	ds_write_b64 v91, v[24:25] offset:6240
	s_waitcnt lgkmcnt(0)
	s_barrier
	ds_read2_b64 v[52:55], v91 offset1:65
	ds_read2_b64 v[66:69], v91 offset0:130 offset1:195
	ds_read2_b64 v[74:77], v129 offset0:4 offset1:69
	ds_read_b64 v[140:141], v91 offset:6240
	ds_read2_b64 v[158:161], v129 offset0:134 offset1:199
	ds_read2_b64 v[70:73], v131 offset0:138 offset1:203
	;; [unrolled: 1-line block ×3, first 2 shown]
	s_waitcnt lgkmcnt(6)
	v_pk_add_f32 v[24:25], v[52:53], v[54:55]
	s_waitcnt lgkmcnt(3)
	v_pk_add_f32 v[58:59], v[140:141], v[54:55]
	v_pk_add_f32 v[24:25], v[24:25], v[66:67]
	v_pk_add_f32 v[60:61], v[54:55], v[140:141] neg_lo:[0,1] neg_hi:[0,1]
	v_pk_add_f32 v[24:25], v[24:25], v[68:69]
	s_waitcnt lgkmcnt(1)
	v_pk_add_f32 v[62:63], v[72:73], v[66:67]
	v_pk_add_f32 v[24:25], v[24:25], v[74:75]
	v_pk_add_f32 v[64:65], v[66:67], v[72:73] neg_lo:[0,1] neg_hi:[0,1]
	v_pk_add_f32 v[24:25], v[24:25], v[76:77]
	v_mov_b32_e32 v54, v58
	v_pk_add_f32 v[24:25], v[24:25], v[158:159]
	v_mov_b32_e32 v55, v60
	;; [unrolled: 2-line block ×3, first 2 shown]
	s_waitcnt lgkmcnt(0)
	v_pk_add_f32 v[24:25], v[24:25], v[136:137]
	v_mov_b32_e32 v143, v59
	v_pk_add_f32 v[24:25], v[24:25], v[138:139]
	v_mov_b32_e32 v56, v62
	;; [unrolled: 2-line block ×3, first 2 shown]
	v_pk_mul_f32 v[150:151], v[54:55], s[54:55]
	v_pk_add_f32 v[144:145], v[24:25], v[72:73]
	v_mov_b32_e32 v146, v65
	v_mov_b32_e32 v147, v63
	v_pk_fma_f32 v[24:25], v[142:143], s[18:19], v[150:151] neg_lo:[1,0,0] neg_hi:[1,0,0]
	v_pk_fma_f32 v[148:149], v[142:143], s[18:19], v[150:151]
	v_pk_mul_f32 v[156:157], v[56:57], s[26:27]
	v_mov_b32_e32 v25, v149
	v_pk_fma_f32 v[66:67], v[146:147], s[14:15], v[156:157] neg_lo:[1,0,0] neg_hi:[1,0,0]
	v_pk_fma_f32 v[154:155], v[146:147], s[14:15], v[156:157]
	v_pk_add_f32 v[24:25], v[52:53], v[24:25]
	v_mov_b32_e32 v67, v155
	v_pk_add_f32 v[24:25], v[66:67], v[24:25]
	v_pk_add_f32 v[66:67], v[70:71], v[68:69]
	v_pk_add_f32 v[68:69], v[68:69], v[70:71] neg_lo:[0,1] neg_hi:[0,1]
	v_pk_add_f32 v[70:71], v[138:139], v[74:75]
	v_pk_add_f32 v[74:75], v[74:75], v[138:139] neg_lo:[0,1] neg_hi:[0,1]
	v_mov_b32_e32 v78, v66
	v_mov_b32_e32 v79, v68
	v_pk_add_f32 v[72:73], v[136:137], v[76:77]
	v_pk_add_f32 v[76:77], v[76:77], v[136:137] neg_lo:[0,1] neg_hi:[0,1]
	v_mov_b32_e32 v152, v69
	v_mov_b32_e32 v153, v67
	;; [unrolled: 1-line block ×4, first 2 shown]
	v_pk_mul_f32 v[168:169], v[78:79], s[52:53]
	v_pk_add_f32 v[136:137], v[160:161], v[158:159]
	v_pk_add_f32 v[138:139], v[158:159], v[160:161] neg_lo:[0,1] neg_hi:[0,1]
	v_mov_b32_e32 v160, v75
	v_mov_b32_e32 v161, v71
	;; [unrolled: 1-line block ×4, first 2 shown]
	v_pk_fma_f32 v[108:109], v[152:153], s[22:23], v[168:169] neg_lo:[1,0,0] neg_hi:[1,0,0]
	v_pk_fma_f32 v[158:159], v[152:153], s[22:23], v[168:169]
	v_pk_mul_f32 v[170:171], v[80:81], s[40:41]
	v_mov_b32_e32 v166, v77
	v_mov_b32_e32 v167, v73
	;; [unrolled: 1-line block ×3, first 2 shown]
	v_pk_fma_f32 v[114:115], v[160:161], s[10:11], v[170:171] neg_lo:[1,0,0] neg_hi:[1,0,0]
	v_pk_fma_f32 v[162:163], v[160:161], s[10:11], v[170:171]
	v_pk_mul_f32 v[172:173], v[94:95], s[30:31]
	v_mov_b32_e32 v115, v163
	v_pk_fma_f32 v[116:117], v[166:167], s[12:13], v[172:173] neg_lo:[1,0,0] neg_hi:[1,0,0]
	v_pk_fma_f32 v[164:165], v[166:167], s[12:13], v[172:173]
	v_pk_add_f32 v[24:25], v[108:109], v[24:25]
	v_mov_b32_e32 v117, v165
	v_pk_add_f32 v[24:25], v[114:115], v[24:25]
	v_mov_b32_e32 v114, v136
	v_mov_b32_e32 v115, v138
	;; [unrolled: 1-line block ×4, first 2 shown]
	v_pk_add_f32 v[24:25], v[116:117], v[24:25]
	v_pk_mul_f32 v[116:117], v[114:115], s[44:45]
	v_pk_mul_f32 v[176:177], v[56:57], s[40:41]
	v_pk_fma_f32 v[122:123], v[108:109], s[16:17], v[116:117] neg_lo:[1,0,0] neg_hi:[1,0,0]
	v_pk_fma_f32 v[124:125], v[108:109], s[16:17], v[116:117]
	v_pk_fma_f32 v[56:57], v[146:147], s[10:11], v[176:177] neg_lo:[1,0,0] neg_hi:[1,0,0]
	v_mov_b32_e32 v123, v125
	v_pk_add_f32 v[24:25], v[122:123], v[24:25]
	v_pk_mul_f32 v[122:123], v[54:55], s[26:27]
	v_pk_fma_f32 v[178:179], v[146:147], s[10:11], v[176:177]
	v_pk_fma_f32 v[54:55], v[142:143], s[14:15], v[122:123] neg_lo:[1,0,0] neg_hi:[1,0,0]
	v_pk_fma_f32 v[174:175], v[142:143], s[14:15], v[122:123]
	v_mov_b32_e32 v57, v179
	v_mov_b32_e32 v55, v175
	v_pk_add_f32 v[54:55], v[52:53], v[54:55]
	v_pk_mul_f32 v[182:183], v[64:65], s[16:17] op_sel_hi:[1,0]
	v_pk_add_f32 v[54:55], v[56:57], v[54:55]
	v_pk_mul_f32 v[56:57], v[60:61], s[22:23] op_sel_hi:[1,0]
	v_pk_fma_f32 v[184:185], v[62:63], s[8:9], v[182:183] op_sel:[0,0,1] op_sel_hi:[1,0,0]
	v_pk_fma_f32 v[180:181], v[58:59], s[0:1], v[56:57] op_sel:[0,0,1] op_sel_hi:[1,0,0]
	v_pk_fma_f32 v[56:57], v[58:59], s[0:1], v[56:57] op_sel:[0,0,1] op_sel_hi:[1,0,0] neg_lo:[0,0,1] neg_hi:[0,0,1]
	v_pk_fma_f32 v[182:183], v[62:63], s[8:9], v[182:183] op_sel:[0,0,1] op_sel_hi:[1,0,0] neg_lo:[0,0,1] neg_hi:[0,0,1]
	v_mov_b32_e32 v187, v57
	v_mov_b32_e32 v57, v181
	v_pk_add_f32 v[56:57], v[52:53], v[56:57]
	v_mov_b32_e32 v181, v183
	v_mov_b32_e32 v183, v185
	v_pk_add_f32 v[56:57], v[182:183], v[56:57]
	v_pk_mul_f32 v[182:183], v[78:79], s[44:45]
	v_pk_mul_f32 v[78:79], v[78:79], s[50:51]
	v_pk_fma_f32 v[188:189], v[152:153], s[16:17], v[182:183] neg_lo:[1,0,0] neg_hi:[1,0,0]
	v_pk_fma_f32 v[190:191], v[152:153], s[16:17], v[182:183]
	v_pk_fma_f32 v[200:201], v[152:153], s[36:37], v[78:79]
	v_mov_b32_e32 v189, v191
	v_pk_add_f32 v[54:55], v[188:189], v[54:55]
	v_pk_mul_f32 v[188:189], v[80:81], s[46:47]
	v_mov_b32_e32 v186, v180
	v_pk_fma_f32 v[192:193], v[160:161], s[28:29], v[188:189] neg_lo:[1,0,0] neg_hi:[1,0,0]
	v_pk_fma_f32 v[194:195], v[160:161], s[28:29], v[188:189]
	v_pk_mul_f32 v[80:81], v[80:81], s[42:43]
	v_mov_b32_e32 v193, v195
	v_pk_add_f32 v[54:55], v[192:193], v[54:55]
	v_pk_mul_f32 v[192:193], v[94:95], s[48:49]
	v_mov_b32_e32 v180, v184
	v_pk_fma_f32 v[196:197], v[166:167], s[20:21], v[192:193] neg_lo:[1,0,0] neg_hi:[1,0,0]
	v_pk_fma_f32 v[198:199], v[166:167], s[20:21], v[192:193]
	v_pk_add_f32 v[184:185], v[144:145], v[140:141]
	v_mov_b32_e32 v197, v199
	v_pk_add_f32 v[54:55], v[196:197], v[54:55]
	v_pk_fma_f32 v[196:197], v[152:153], s[36:37], v[78:79] neg_lo:[1,0,0] neg_hi:[1,0,0]
	v_pk_add_f32 v[140:141], v[52:53], v[186:187]
	v_mov_b32_e32 v197, v201
	v_pk_add_f32 v[56:57], v[196:197], v[56:57]
	v_pk_fma_f32 v[196:197], v[160:161], s[24:25], v[80:81] neg_lo:[1,0,0] neg_hi:[1,0,0]
	v_pk_fma_f32 v[202:203], v[160:161], s[24:25], v[80:81]
	v_pk_add_f32 v[180:181], v[180:181], v[140:141]
	v_pk_fma_f32 v[140:141], v[142:143], s[18:19], v[150:151] neg_lo:[0,0,1] neg_hi:[0,0,1]
	v_pk_fma_f32 v[116:117], v[108:109], s[16:17], v[116:117] neg_lo:[0,0,1] neg_hi:[0,0,1]
	v_mov_b32_e32 v197, v203
	v_pk_mul_f32 v[94:95], v[94:95], s[26:27]
	v_mov_b32_e32 v149, v141
	v_pk_fma_f32 v[140:141], v[146:147], s[14:15], v[156:157] neg_lo:[0,0,1] neg_hi:[0,0,1]
	v_mov_b32_e32 v125, v117
	v_pk_fma_f32 v[116:117], v[152:153], s[16:17], v[182:183] neg_lo:[0,0,1] neg_hi:[0,0,1]
	v_pk_add_f32 v[56:57], v[196:197], v[56:57]
	v_pk_fma_f32 v[196:197], v[166:167], s[14:15], v[94:95] neg_lo:[1,0,0] neg_hi:[1,0,0]
	v_pk_fma_f32 v[204:205], v[166:167], s[14:15], v[94:95]
	v_mov_b32_e32 v155, v141
	v_pk_add_f32 v[140:141], v[52:53], v[148:149]
	v_mov_b32_e32 v191, v117
	v_pk_fma_f32 v[116:117], v[160:161], s[28:29], v[188:189] neg_lo:[0,0,1] neg_hi:[0,0,1]
	v_mov_b32_e32 v197, v205
	v_pk_mul_f32 v[206:207], v[114:115], s[42:43]
	v_pk_add_f32 v[148:149], v[154:155], v[140:141]
	v_pk_fma_f32 v[140:141], v[152:153], s[22:23], v[168:169] neg_lo:[0,0,1] neg_hi:[0,0,1]
	v_mov_b32_e32 v195, v117
	v_pk_fma_f32 v[116:117], v[166:167], s[20:21], v[192:193] neg_lo:[0,0,1] neg_hi:[0,0,1]
	v_pk_add_f32 v[196:197], v[196:197], v[56:57]
	v_pk_fma_f32 v[56:57], v[108:109], s[24:25], v[206:207] neg_lo:[1,0,0] neg_hi:[1,0,0]
	v_pk_fma_f32 v[208:209], v[108:109], s[24:25], v[206:207]
	v_mov_b32_e32 v159, v141
	v_pk_fma_f32 v[140:141], v[160:161], s[10:11], v[170:171] neg_lo:[0,0,1] neg_hi:[0,0,1]
	v_mov_b32_e32 v199, v117
	v_pk_fma_f32 v[116:117], v[108:109], s[24:25], v[206:207] neg_lo:[0,0,1] neg_hi:[0,0,1]
	v_mov_b32_e32 v57, v209
	v_mov_b32_e32 v163, v141
	v_pk_fma_f32 v[140:141], v[166:167], s[12:13], v[172:173] neg_lo:[0,0,1] neg_hi:[0,0,1]
	v_mov_b32_e32 v209, v117
	s_mov_b32 s18, s11
	v_pk_mul_f32 v[116:117], v[60:61], s[10:11] op_sel_hi:[1,0]
	v_pk_fma_f32 v[122:123], v[142:143], s[14:15], v[122:123] neg_lo:[0,0,1] neg_hi:[0,0,1]
	v_mov_b32_e32 v165, v141
	v_pk_fma_f32 v[142:143], v[58:59], s[18:19], v[116:117] op_sel:[0,0,1] op_sel_hi:[1,0,0]
	v_pk_fma_f32 v[140:141], v[58:59], s[18:19], v[116:117] op_sel:[0,0,1] op_sel_hi:[1,0,0] neg_lo:[0,0,1] neg_hi:[0,0,1]
	s_mov_b32 s26, s13
	v_pk_mul_f32 v[144:145], v[64:65], s[28:29] op_sel_hi:[1,0]
	v_mov_b32_e32 v175, v123
	v_pk_fma_f32 v[122:123], v[146:147], s[10:11], v[176:177] neg_lo:[0,0,1] neg_hi:[0,0,1]
	v_mov_b32_e32 v116, v142
	v_mov_b32_e32 v117, v141
	v_pk_fma_f32 v[146:147], v[62:63], s[26:27], v[144:145] op_sel:[0,0,1] op_sel_hi:[1,0,0]
	v_pk_fma_f32 v[144:145], v[62:63], s[26:27], v[144:145] op_sel:[0,0,1] op_sel_hi:[1,0,0] neg_lo:[0,0,1] neg_hi:[0,0,1]
	v_pk_fma_f32 v[80:81], v[160:161], s[24:25], v[80:81] neg_lo:[0,0,1] neg_hi:[0,0,1]
	v_pk_mul_f32 v[114:115], v[114:115], s[30:31]
	v_mov_b32_e32 v150, v146
	v_mov_b32_e32 v151, v145
	v_pk_add_f32 v[116:117], v[52:53], v[116:117]
	v_mov_b32_e32 v203, v81
	v_pk_fma_f32 v[80:81], v[166:167], s[14:15], v[94:95] neg_lo:[0,0,1] neg_hi:[0,0,1]
	v_pk_fma_f32 v[210:211], v[108:109], s[12:13], v[114:115] neg_lo:[1,0,0] neg_hi:[1,0,0]
	v_pk_fma_f32 v[212:213], v[108:109], s[12:13], v[114:115]
	v_pk_add_f32 v[116:117], v[150:151], v[116:117]
	s_mov_b32 s28, s19
	v_pk_mul_f32 v[150:151], v[68:69], s[24:25] op_sel_hi:[1,0]
	v_mov_b32_e32 v205, v81
	v_pk_fma_f32 v[80:81], v[108:109], s[12:13], v[114:115] neg_lo:[0,0,1] neg_hi:[0,0,1]
	v_pk_add_f32 v[114:115], v[158:159], v[148:149]
	v_pk_fma_f32 v[154:155], v[66:67], s[28:29], v[150:151] op_sel:[0,0,1] op_sel_hi:[1,0,0]
	v_pk_fma_f32 v[150:151], v[66:67], s[28:29], v[150:151] op_sel:[0,0,1] op_sel_hi:[1,0,0] neg_lo:[0,0,1] neg_hi:[0,0,1]
	v_pk_add_f32 v[114:115], v[162:163], v[114:115]
	v_mov_b32_e32 v179, v123
	v_pk_add_f32 v[122:123], v[52:53], v[174:175]
	v_mov_b32_e32 v156, v154
	v_mov_b32_e32 v157, v151
	v_pk_fma_f32 v[78:79], v[152:153], s[36:37], v[78:79] neg_lo:[0,0,1] neg_hi:[0,0,1]
	v_pk_add_f32 v[114:115], v[164:165], v[114:115]
	v_pk_add_f32 v[122:123], v[178:179], v[122:123]
	v_pk_add_f32 v[116:117], v[156:157], v[116:117]
	v_pk_mul_f32 v[156:157], v[74:75], s[22:23] op_sel_hi:[1,0]
	v_mov_b32_e32 v201, v79
	v_pk_add_f32 v[114:115], v[124:125], v[114:115]
	v_pk_fma_f32 v[168:169], v[70:71], s[0:1], v[156:157] op_sel:[0,0,1] op_sel_hi:[1,0,0]
	v_pk_fma_f32 v[156:157], v[70:71], s[0:1], v[156:157] op_sel:[0,0,1] op_sel_hi:[1,0,0] neg_lo:[0,0,1] neg_hi:[0,0,1]
	v_pk_add_f32 v[78:79], v[200:201], v[180:181]
	s_barrier
	ds_write2_b64 v127, v[184:185], v[114:115] offset1:1
	v_pk_add_f32 v[114:115], v[190:191], v[122:123]
	v_mov_b32_e32 v170, v168
	v_mov_b32_e32 v171, v157
	v_pk_add_f32 v[78:79], v[202:203], v[78:79]
	v_pk_add_f32 v[114:115], v[194:195], v[114:115]
	v_mov_b32_e32 v211, v213
	v_pk_add_f32 v[116:117], v[170:171], v[116:117]
	v_pk_mul_f32 v[170:171], v[76:77], s[38:39] op_sel_hi:[1,0]
	v_pk_add_f32 v[78:79], v[204:205], v[78:79]
	v_mov_b32_e32 v213, v81
	v_pk_add_f32 v[114:115], v[198:199], v[114:115]
	v_pk_fma_f32 v[172:173], v[72:73], s[8:9], v[170:171] op_sel:[0,0,1] op_sel_hi:[1,0,0]
	v_pk_fma_f32 v[170:171], v[72:73], s[8:9], v[170:171] op_sel:[0,0,1] op_sel_hi:[1,0,0] neg_lo:[0,0,1] neg_hi:[0,0,1]
	s_mov_b32 s22, s15
	v_pk_add_f32 v[78:79], v[212:213], v[78:79]
	v_pk_mul_f32 v[80:81], v[138:139], s[34:35] op_sel_hi:[1,0]
	v_pk_add_f32 v[114:115], v[208:209], v[114:115]
	v_mov_b32_e32 v174, v172
	v_mov_b32_e32 v175, v171
	v_pk_fma_f32 v[94:95], v[136:137], s[22:23], v[80:81] op_sel:[0,0,1] op_sel_hi:[1,0,0]
	v_pk_fma_f32 v[80:81], v[136:137], s[22:23], v[80:81] op_sel:[0,0,1] op_sel_hi:[1,0,0] neg_lo:[0,0,1] neg_hi:[0,0,1]
	ds_write2_b64 v127, v[114:115], v[78:79] offset0:2 offset1:3
	v_pk_mul_f32 v[78:79], v[60:61], s[12:13] op_sel_hi:[1,0]
	v_pk_add_f32 v[116:117], v[174:175], v[116:117]
	v_mov_b32_e32 v108, v94
	v_mov_b32_e32 v109, v81
	v_pk_fma_f32 v[114:115], v[58:59], s[26:27], v[78:79] op_sel:[0,0,1] op_sel_hi:[1,0,0]
	v_pk_fma_f32 v[78:79], v[58:59], s[26:27], v[78:79] op_sel:[0,0,1] op_sel_hi:[1,0,0] neg_lo:[0,0,1] neg_hi:[0,0,1]
	v_pk_mul_f32 v[122:123], v[64:65], s[20:21] op_sel_hi:[1,0]
	v_pk_add_f32 v[108:109], v[108:109], v[116:117]
	v_mov_b32_e32 v116, v114
	v_mov_b32_e32 v117, v79
	v_pk_fma_f32 v[124:125], v[62:63], s[0:1], v[122:123] op_sel:[0,0,1] op_sel_hi:[1,0,0]
	v_pk_fma_f32 v[122:123], v[62:63], s[0:1], v[122:123] op_sel:[0,0,1] op_sel_hi:[1,0,0] neg_lo:[0,0,1] neg_hi:[0,0,1]
	v_mov_b32_e32 v148, v124
	v_mov_b32_e32 v149, v123
	v_pk_add_f32 v[116:117], v[52:53], v[116:117]
	v_pk_mul_f32 v[160:161], v[74:75], s[38:39] op_sel_hi:[1,0]
	v_pk_add_f32 v[116:117], v[148:149], v[116:117]
	v_pk_mul_f32 v[148:149], v[68:69], s[14:15] op_sel_hi:[1,0]
	v_pk_fma_f32 v[162:163], v[70:71], s[8:9], v[160:161] op_sel:[0,0,1] op_sel_hi:[1,0,0]
	v_pk_fma_f32 v[152:153], v[66:67], s[22:23], v[148:149] op_sel:[0,0,1] op_sel_hi:[1,0,0]
	v_pk_fma_f32 v[148:149], v[66:67], s[22:23], v[148:149] op_sel:[0,0,1] op_sel_hi:[1,0,0] neg_lo:[0,0,1] neg_hi:[0,0,1]
	v_mov_b32_e32 v158, v152
	v_mov_b32_e32 v159, v149
	v_pk_fma_f32 v[160:161], v[70:71], s[8:9], v[160:161] op_sel:[0,0,1] op_sel_hi:[1,0,0] neg_lo:[0,0,1] neg_hi:[0,0,1]
	v_mov_b32_e32 v164, v162
	v_mov_b32_e32 v165, v161
	v_pk_add_f32 v[116:117], v[158:159], v[116:117]
	v_pk_mul_f32 v[158:159], v[76:77], s[24:25] op_sel_hi:[1,0]
	v_pk_add_f32 v[116:117], v[164:165], v[116:117]
	v_pk_fma_f32 v[164:165], v[72:73], s[28:29], v[158:159] op_sel:[0,0,1] op_sel_hi:[1,0,0]
	v_pk_fma_f32 v[158:159], v[72:73], s[28:29], v[158:159] op_sel:[0,0,1] op_sel_hi:[1,0,0] neg_lo:[0,0,1] neg_hi:[0,0,1]
	v_mov_b32_e32 v166, v164
	v_mov_b32_e32 v167, v159
	v_pk_add_f32 v[116:117], v[166:167], v[116:117]
	v_pk_mul_f32 v[166:167], v[138:139], s[10:11] op_sel_hi:[1,0]
	v_pk_mul_f32 v[60:61], v[60:61], s[16:17] op_sel_hi:[1,0]
	v_pk_fma_f32 v[174:175], v[136:137], s[18:19], v[166:167] op_sel:[0,0,1] op_sel_hi:[1,0,0]
	v_pk_fma_f32 v[166:167], v[136:137], s[18:19], v[166:167] op_sel:[0,0,1] op_sel_hi:[1,0,0] neg_lo:[0,0,1] neg_hi:[0,0,1]
	v_mov_b32_e32 v176, v174
	v_mov_b32_e32 v177, v167
	v_pk_add_f32 v[116:117], v[176:177], v[116:117]
	ds_write2_b64 v127, v[108:109], v[116:117] offset0:4 offset1:5
	v_pk_fma_f32 v[108:109], v[58:59], s[8:9], v[60:61] op_sel:[0,0,1] op_sel_hi:[1,0,0]
	v_pk_fma_f32 v[58:59], v[58:59], s[8:9], v[60:61] op_sel:[0,0,1] op_sel_hi:[1,0,0] neg_lo:[0,0,1] neg_hi:[0,0,1]
	v_pk_mul_f32 v[60:61], v[64:65], s[24:25] op_sel_hi:[1,0]
	v_pk_mul_f32 v[68:69], v[68:69], s[12:13] op_sel_hi:[1,0]
	v_pk_fma_f32 v[64:65], v[62:63], s[28:29], v[60:61] op_sel:[0,0,1] op_sel_hi:[1,0,0]
	v_pk_fma_f32 v[60:61], v[62:63], s[28:29], v[60:61] op_sel:[0,0,1] op_sel_hi:[1,0,0] neg_lo:[0,0,1] neg_hi:[0,0,1]
	v_mov_b32_e32 v62, v108
	v_mov_b32_e32 v63, v59
	;; [unrolled: 1-line block ×4, first 2 shown]
	v_pk_add_f32 v[62:63], v[52:53], v[62:63]
	v_mov_b32_e32 v59, v109
	v_pk_add_f32 v[62:63], v[116:117], v[62:63]
	v_pk_fma_f32 v[116:117], v[66:67], s[26:27], v[68:69] op_sel:[0,0,1] op_sel_hi:[1,0,0]
	v_pk_fma_f32 v[66:67], v[66:67], s[26:27], v[68:69] op_sel:[0,0,1] op_sel_hi:[1,0,0] neg_lo:[0,0,1] neg_hi:[0,0,1]
	v_pk_mul_f32 v[68:69], v[74:75], s[34:35] op_sel_hi:[1,0]
	v_mov_b32_e32 v61, v65
	v_pk_fma_f32 v[74:75], v[70:71], s[22:23], v[68:69] op_sel:[0,0,1] op_sel_hi:[1,0,0]
	v_pk_fma_f32 v[68:69], v[70:71], s[22:23], v[68:69] op_sel:[0,0,1] op_sel_hi:[1,0,0] neg_lo:[0,0,1] neg_hi:[0,0,1]
	v_pk_mul_f32 v[70:71], v[76:77], s[10:11] op_sel_hi:[1,0]
	v_pk_add_f32 v[58:59], v[52:53], v[58:59]
	v_pk_fma_f32 v[76:77], v[72:73], s[18:19], v[70:71] op_sel:[0,0,1] op_sel_hi:[1,0,0]
	v_pk_fma_f32 v[70:71], v[72:73], s[18:19], v[70:71] op_sel:[0,0,1] op_sel_hi:[1,0,0] neg_lo:[0,0,1] neg_hi:[0,0,1]
	v_pk_mul_f32 v[72:73], v[138:139], s[20:21] op_sel_hi:[1,0]
	v_pk_add_f32 v[58:59], v[60:61], v[58:59]
	v_pk_fma_f32 v[138:139], v[136:137], s[0:1], v[72:73] op_sel:[0,0,1] op_sel_hi:[1,0,0]
	v_pk_fma_f32 v[72:73], v[136:137], s[0:1], v[72:73] op_sel:[0,0,1] op_sel_hi:[1,0,0] neg_lo:[0,0,1] neg_hi:[0,0,1]
	v_mov_b32_e32 v136, v116
	v_mov_b32_e32 v137, v67
	;; [unrolled: 1-line block ×3, first 2 shown]
	v_pk_add_f32 v[62:63], v[136:137], v[62:63]
	v_mov_b32_e32 v136, v74
	v_mov_b32_e32 v137, v69
	v_mov_b32_e32 v69, v75
	v_pk_add_f32 v[58:59], v[66:67], v[58:59]
	v_pk_add_f32 v[62:63], v[136:137], v[62:63]
	v_mov_b32_e32 v136, v76
	v_mov_b32_e32 v137, v71
	v_mov_b32_e32 v71, v77
	v_pk_add_f32 v[58:59], v[68:69], v[58:59]
	;; [unrolled: 5-line block ×3, first 2 shown]
	v_pk_add_f32 v[62:63], v[136:137], v[62:63]
	v_pk_add_f32 v[58:59], v[72:73], v[58:59]
	v_mov_b32_e32 v79, v115
	v_mov_b32_e32 v141, v143
	ds_write2_b64 v127, v[62:63], v[58:59] offset0:6 offset1:7
	v_mov_b32_e32 v123, v125
	v_pk_add_f32 v[58:59], v[52:53], v[78:79]
	v_mov_b32_e32 v145, v147
	v_pk_add_f32 v[52:53], v[52:53], v[140:141]
	v_pk_add_f32 v[58:59], v[122:123], v[58:59]
	v_mov_b32_e32 v149, v153
	v_mov_b32_e32 v151, v155
	v_pk_add_f32 v[52:53], v[144:145], v[52:53]
	v_mov_b32_e32 v161, v163
	v_pk_add_f32 v[58:59], v[148:149], v[58:59]
	;; [unrolled: 2-line block ×7, first 2 shown]
	v_pk_add_f32 v[58:59], v[166:167], v[58:59]
	v_pk_add_f32 v[52:53], v[80:81], v[52:53]
	;; [unrolled: 1-line block ×4, first 2 shown]
	ds_write2_b64 v127, v[58:59], v[52:53] offset0:8 offset1:9
	ds_write2_b64 v127, v[54:55], v[56:57] offset0:10 offset1:11
	ds_write_b64 v127, v[24:25] offset:96
	s_waitcnt lgkmcnt(0)
	s_barrier
	ds_read2_b64 v[58:61], v91 offset1:65
	ds_read2_b64 v[74:77], v91 offset0:169 offset1:234
	ds_read2_b64 v[70:73], v129 offset0:82 offset1:147
	;; [unrolled: 1-line block ×4, first 2 shown]
	v_accvgpr_read_b32 v180, a18
	v_accvgpr_read_b32 v181, a18
	;; [unrolled: 1-line block ×6, first 2 shown]
	v_mov_b32_e32 v9, v8
	v_accvgpr_read_b32 v176, a12
	v_accvgpr_read_b32 v177, a12
	v_mov_b32_e32 v138, v37
	v_mov_b32_e32 v140, v41
	;; [unrolled: 1-line block ×4, first 2 shown]
	s_and_saveexec_b64 s[0:1], vcc
	s_cbranch_execz .LBB0_7
; %bb.6:
	v_add_u32_e32 v24, 0x400, v91
	ds_read2_b64 v[54:57], v24 offset0:2 offset1:171
	ds_read2_b64 v[24:27], v31 offset0:84 offset1:253
	ds_read_b64 a[8:9], v91 offset:6448
.LBB0_7:
	s_or_b64 exec, exec, s[0:1]
	s_waitcnt lgkmcnt(3)
	v_pk_mul_f32 v[78:79], v[180:181], v[74:75]
	s_waitcnt lgkmcnt(2)
	v_pk_mul_f32 v[80:81], v[118:119], v[70:71]
	v_pk_fma_f32 v[118:119], v[20:21], v[74:75], v[78:79] op_sel:[0,0,1] op_sel_hi:[1,1,0]
	v_pk_fma_f32 v[20:21], v[20:21], v[74:75], v[78:79] op_sel:[0,0,1] op_sel_hi:[1,1,0] neg_lo:[0,0,1] neg_hi:[0,0,1]
	s_waitcnt lgkmcnt(1)
	v_pk_mul_f32 v[94:95], v[108:109], v[66:67]
	v_mov_b32_e32 v119, v21
	v_pk_fma_f32 v[20:21], v[22:23], v[70:71], v[80:81] op_sel:[0,0,1] op_sel_hi:[1,1,0]
	v_pk_fma_f32 v[22:23], v[22:23], v[70:71], v[80:81] op_sel:[0,0,1] op_sel_hi:[1,1,0] neg_lo:[0,0,1] neg_hi:[0,0,1]
	s_waitcnt lgkmcnt(0)
	v_pk_mul_f32 v[108:109], v[110:111], v[62:63]
	v_mov_b32_e32 v21, v23
	v_pk_fma_f32 v[22:23], v[16:17], v[66:67], v[94:95] op_sel:[0,0,1] op_sel_hi:[1,1,0]
	v_pk_fma_f32 v[16:17], v[16:17], v[66:67], v[94:95] op_sel:[0,0,1] op_sel_hi:[1,1,0] neg_lo:[0,0,1] neg_hi:[0,0,1]
	s_mov_b32 s8, 0x3f737871
	v_mov_b32_e32 v23, v17
	v_pk_fma_f32 v[16:17], v[18:19], v[62:63], v[108:109] op_sel:[0,0,1] op_sel_hi:[1,1,0]
	v_pk_fma_f32 v[18:19], v[18:19], v[62:63], v[108:109] op_sel:[0,0,1] op_sel_hi:[1,1,0] neg_lo:[0,0,1] neg_hi:[0,0,1]
	v_pk_add_f32 v[62:63], v[20:21], v[22:23]
	v_mov_b32_e32 v17, v19
	v_pk_add_f32 v[66:67], v[118:119], v[16:17] neg_lo:[0,1] neg_hi:[0,1]
	v_pk_fma_f32 v[62:63], v[62:63], 0.5, v[58:59] op_sel_hi:[1,0,1] neg_lo:[1,0,0] neg_hi:[1,0,0]
	v_pk_mul_f32 v[70:71], v[66:67], s[8:9] op_sel_hi:[1,0]
	v_pk_add_f32 v[74:75], v[20:21], v[22:23] neg_lo:[0,1] neg_hi:[0,1]
	s_mov_b32 s10, 0x3f167918
	v_pk_add_f32 v[80:81], v[118:119], v[20:21] neg_lo:[0,1] neg_hi:[0,1]
	v_pk_add_f32 v[94:95], v[16:17], v[22:23] neg_lo:[0,1] neg_hi:[0,1]
	v_pk_add_f32 v[18:19], v[58:59], v[118:119]
	v_pk_mul_f32 v[78:79], v[74:75], s[10:11] op_sel_hi:[1,0]
	v_pk_add_f32 v[80:81], v[80:81], v[94:95]
	v_pk_add_f32 v[94:95], v[62:63], v[70:71] op_sel:[0,1] op_sel_hi:[1,0] neg_lo:[0,1] neg_hi:[0,1]
	v_pk_add_f32 v[62:63], v[62:63], v[70:71] op_sel:[0,1] op_sel_hi:[1,0]
	v_pk_add_f32 v[18:19], v[18:19], v[20:21]
	v_pk_add_f32 v[62:63], v[62:63], v[78:79] op_sel:[0,1] op_sel_hi:[1,0]
	v_pk_add_f32 v[70:71], v[94:95], v[78:79] op_sel:[0,1] op_sel_hi:[1,0] neg_lo:[0,1] neg_hi:[0,1]
	v_pk_add_f32 v[18:19], v[18:19], v[22:23]
	s_mov_b32 s0, 0x3e9e377a
	v_mov_b32_e32 v78, v70
	v_mov_b32_e32 v79, v63
	v_pk_add_f32 v[18:19], v[18:19], v[16:17]
	v_pk_fma_f32 v[78:79], v[80:81], s[0:1], v[78:79] op_sel_hi:[1,0,1]
	v_accvgpr_read_b32 v70, a10
	s_barrier
	ds_write2_b64 v70, v[18:19], v[78:79] offset1:13
	v_pk_add_f32 v[18:19], v[118:119], v[16:17]
	v_pk_add_f32 v[20:21], v[20:21], v[118:119] neg_lo:[0,1] neg_hi:[0,1]
	v_pk_add_f32 v[16:17], v[22:23], v[16:17] neg_lo:[0,1] neg_hi:[0,1]
	v_pk_fma_f32 v[18:19], v[18:19], 0.5, v[58:59] op_sel_hi:[1,0,1] neg_lo:[1,0,0] neg_hi:[1,0,0]
	v_pk_add_f32 v[16:17], v[20:21], v[16:17]
	v_pk_mul_f32 v[20:21], v[74:75], s[8:9] op_sel_hi:[1,0]
	v_pk_mul_f32 v[22:23], v[66:67], s[10:11] op_sel_hi:[1,0]
	v_pk_add_f32 v[58:59], v[18:19], v[20:21] op_sel:[0,1] op_sel_hi:[1,0]
	v_pk_add_f32 v[18:19], v[18:19], v[20:21] op_sel:[0,1] op_sel_hi:[1,0] neg_lo:[0,1] neg_hi:[0,1]
	v_pk_add_f32 v[20:21], v[58:59], v[22:23] op_sel:[0,1] op_sel_hi:[1,0] neg_lo:[0,1] neg_hi:[0,1]
	v_pk_add_f32 v[18:19], v[18:19], v[22:23] op_sel:[0,1] op_sel_hi:[1,0]
	v_mov_b32_e32 v22, v20
	v_mov_b32_e32 v23, v19
	v_mov_b32_e32 v19, v21
	v_pk_fma_f32 v[22:23], v[16:17], s[0:1], v[22:23] op_sel_hi:[1,0,1]
	v_pk_fma_f32 v[16:17], v[16:17], s[0:1], v[18:19] op_sel_hi:[1,0,1]
	v_mov_b32_e32 v63, v71
	v_pk_mul_f32 v[110:111], v[178:179], v[76:77]
	ds_write2_b64 v70, v[22:23], v[16:17] offset0:26 offset1:39
	v_pk_fma_f32 v[16:17], v[80:81], s[0:1], v[62:63] op_sel_hi:[1,0,1]
	v_pk_mul_f32 v[114:115], v[120:121], v[72:73]
	ds_write_b64 v70, v[16:17] offset:416
	v_pk_fma_f32 v[16:17], v[12:13], v[76:77], v[110:111] op_sel:[0,0,1] op_sel_hi:[1,1,0]
	v_pk_fma_f32 v[12:13], v[12:13], v[76:77], v[110:111] op_sel:[0,0,1] op_sel_hi:[1,1,0] neg_lo:[0,0,1] neg_hi:[0,0,1]
	v_pk_mul_f32 v[116:117], v[176:177], v[68:69]
	v_mov_b32_e32 v17, v13
	v_pk_fma_f32 v[12:13], v[14:15], v[72:73], v[114:115] op_sel:[0,0,1] op_sel_hi:[1,1,0]
	v_pk_fma_f32 v[14:15], v[14:15], v[72:73], v[114:115] op_sel:[0,0,1] op_sel_hi:[1,1,0] neg_lo:[0,0,1] neg_hi:[0,0,1]
	v_pk_mul_f32 v[112:113], v[112:113], v[64:65]
	v_mov_b32_e32 v13, v15
	v_pk_fma_f32 v[14:15], v[8:9], v[68:69], v[116:117] op_sel:[0,0,1] op_sel_hi:[1,1,0]
	v_pk_fma_f32 v[8:9], v[8:9], v[68:69], v[116:117] op_sel:[0,0,1] op_sel_hi:[1,1,0] neg_lo:[0,0,1] neg_hi:[0,0,1]
	v_mov_b32_e32 v31, v30
	v_mov_b32_e32 v15, v9
	v_pk_fma_f32 v[8:9], v[10:11], v[64:65], v[112:113] op_sel:[0,0,1] op_sel_hi:[1,1,0]
	v_pk_fma_f32 v[10:11], v[10:11], v[64:65], v[112:113] op_sel:[0,0,1] op_sel_hi:[1,1,0] neg_lo:[0,0,1] neg_hi:[0,0,1]
	v_pk_add_f32 v[18:19], v[12:13], v[14:15]
	v_mov_b32_e32 v9, v11
	v_pk_add_f32 v[20:21], v[16:17], v[8:9] neg_lo:[0,1] neg_hi:[0,1]
	v_pk_fma_f32 v[18:19], v[18:19], 0.5, v[60:61] op_sel_hi:[1,0,1] neg_lo:[1,0,0] neg_hi:[1,0,0]
	v_pk_mul_f32 v[22:23], v[20:21], s[8:9] op_sel_hi:[1,0]
	v_pk_add_f32 v[58:59], v[12:13], v[14:15] neg_lo:[0,1] neg_hi:[0,1]
	v_pk_add_f32 v[64:65], v[16:17], v[12:13] neg_lo:[0,1] neg_hi:[0,1]
	;; [unrolled: 1-line block ×3, first 2 shown]
	v_pk_add_f32 v[10:11], v[60:61], v[16:17]
	v_pk_mul_f32 v[62:63], v[58:59], s[10:11] op_sel_hi:[1,0]
	v_pk_add_f32 v[64:65], v[64:65], v[66:67]
	v_pk_add_f32 v[66:67], v[18:19], v[22:23] op_sel:[0,1] op_sel_hi:[1,0] neg_lo:[0,1] neg_hi:[0,1]
	v_pk_add_f32 v[18:19], v[18:19], v[22:23] op_sel:[0,1] op_sel_hi:[1,0]
	v_pk_add_f32 v[10:11], v[10:11], v[12:13]
	v_pk_add_f32 v[18:19], v[18:19], v[62:63] op_sel:[0,1] op_sel_hi:[1,0]
	v_pk_add_f32 v[22:23], v[66:67], v[62:63] op_sel:[0,1] op_sel_hi:[1,0] neg_lo:[0,1] neg_hi:[0,1]
	v_pk_add_f32 v[10:11], v[10:11], v[14:15]
	v_mov_b32_e32 v62, v22
	v_mov_b32_e32 v63, v19
	v_pk_add_f32 v[10:11], v[10:11], v[8:9]
	v_pk_fma_f32 v[62:63], v[64:65], s[0:1], v[62:63] op_sel_hi:[1,0,1]
	v_accvgpr_read_b32 v22, a11
	ds_write2_b64 v22, v[10:11], v[62:63] offset1:13
	v_pk_add_f32 v[10:11], v[16:17], v[8:9]
	v_pk_add_f32 v[12:13], v[12:13], v[16:17] neg_lo:[0,1] neg_hi:[0,1]
	v_pk_add_f32 v[8:9], v[14:15], v[8:9] neg_lo:[0,1] neg_hi:[0,1]
	v_pk_fma_f32 v[10:11], v[10:11], 0.5, v[60:61] op_sel_hi:[1,0,1] neg_lo:[1,0,0] neg_hi:[1,0,0]
	v_pk_add_f32 v[8:9], v[12:13], v[8:9]
	v_pk_mul_f32 v[12:13], v[58:59], s[8:9] op_sel_hi:[1,0]
	v_pk_mul_f32 v[14:15], v[20:21], s[10:11] op_sel_hi:[1,0]
	v_pk_add_f32 v[16:17], v[10:11], v[12:13] op_sel:[0,1] op_sel_hi:[1,0]
	v_pk_add_f32 v[10:11], v[10:11], v[12:13] op_sel:[0,1] op_sel_hi:[1,0] neg_lo:[0,1] neg_hi:[0,1]
	v_pk_add_f32 v[12:13], v[16:17], v[14:15] op_sel:[0,1] op_sel_hi:[1,0] neg_lo:[0,1] neg_hi:[0,1]
	v_pk_add_f32 v[10:11], v[10:11], v[14:15] op_sel:[0,1] op_sel_hi:[1,0]
	v_mov_b32_e32 v14, v12
	v_mov_b32_e32 v15, v11
	;; [unrolled: 1-line block ×3, first 2 shown]
	v_pk_fma_f32 v[14:15], v[8:9], s[0:1], v[14:15] op_sel_hi:[1,0,1]
	v_pk_fma_f32 v[8:9], v[8:9], s[0:1], v[10:11] op_sel_hi:[1,0,1]
	v_mov_b32_e32 v19, v23
	v_mov_b32_e32 v135, v134
	;; [unrolled: 1-line block ×18, first 2 shown]
	ds_write2_b64 v22, v[14:15], v[8:9] offset0:26 offset1:39
	v_pk_fma_f32 v[8:9], v[64:65], s[0:1], v[18:19] op_sel_hi:[1,0,1]
	ds_write_b64 v22, v[8:9] offset:416
	s_and_saveexec_b64 s[12:13], vcc
	s_cbranch_execz .LBB0_9
; %bb.8:
	v_accvgpr_read_b32 v16, a6
	v_mul_u32_u24_e32 v16, 0x41, v16
	v_accvgpr_read_b32 v17, a7
	v_pk_mul_f32 v[8:9], v[6:7], v[24:25] op_sel:[0,1]
	v_add_u32_sdwa v16, v16, v17 dst_sel:DWORD dst_unused:UNUSED_PAD src0_sel:DWORD src1_sel:BYTE_0
	v_accvgpr_read_b32 v17, a5
	v_pk_mul_f32 v[10:11], v[4:5], v[56:57] op_sel:[0,1]
	v_accvgpr_read_b32 v19, a9
	v_lshl_add_u32 v58, v16, 3, v17
	v_pk_fma_f32 v[16:17], v[6:7], v[24:25], v[8:9] op_sel:[0,0,1] op_sel_hi:[1,1,0]
	v_pk_fma_f32 v[6:7], v[6:7], v[24:25], v[8:9] op_sel:[0,0,1] op_sel_hi:[1,0,0] neg_lo:[1,0,0] neg_hi:[1,0,0]
	v_pk_mul_f32 v[12:13], v[0:1], v[26:27] op_sel:[0,1]
	v_accvgpr_read_b32 v18, a8
	v_mov_b32_e32 v17, v7
	v_pk_fma_f32 v[6:7], v[4:5], v[56:57], v[10:11] op_sel:[0,0,1] op_sel_hi:[1,1,0]
	v_pk_fma_f32 v[4:5], v[4:5], v[56:57], v[10:11] op_sel:[0,0,1] op_sel_hi:[1,0,0] neg_lo:[1,0,0] neg_hi:[1,0,0]
	v_pk_mul_f32 v[14:15], v[2:3], v[18:19] op_sel:[0,1]
	v_mov_b32_e32 v7, v5
	v_pk_fma_f32 v[4:5], v[0:1], v[26:27], v[12:13] op_sel:[0,0,1] op_sel_hi:[1,1,0]
	v_pk_fma_f32 v[0:1], v[0:1], v[26:27], v[12:13] op_sel:[0,0,1] op_sel_hi:[1,0,0] neg_lo:[1,0,0] neg_hi:[1,0,0]
	v_pk_add_f32 v[20:21], v[6:7], v[16:17] neg_lo:[0,1] neg_hi:[0,1]
	v_mov_b32_e32 v5, v1
	v_pk_fma_f32 v[0:1], v[2:3], v[18:19], v[14:15] op_sel:[0,0,1] op_sel_hi:[1,1,0]
	v_pk_fma_f32 v[2:3], v[2:3], v[18:19], v[14:15] op_sel:[0,0,1] op_sel_hi:[1,0,0] neg_lo:[1,0,0] neg_hi:[1,0,0]
	v_pk_add_f32 v[12:13], v[16:17], v[4:5]
	v_mov_b32_e32 v1, v3
	v_pk_add_f32 v[10:11], v[6:7], v[0:1] neg_lo:[0,1] neg_hi:[0,1]
	v_pk_add_f32 v[8:9], v[16:17], v[4:5] neg_lo:[0,1] neg_hi:[0,1]
	v_pk_fma_f32 v[12:13], v[12:13], 0.5, v[54:55] op_sel_hi:[1,0,1] neg_lo:[1,0,0] neg_hi:[1,0,0]
	v_pk_mul_f32 v[14:15], v[10:11], s[8:9] op_sel_hi:[1,0]
	v_pk_add_f32 v[22:23], v[0:1], v[4:5] neg_lo:[0,1] neg_hi:[0,1]
	v_pk_add_f32 v[2:3], v[54:55], v[6:7]
	v_pk_mul_f32 v[18:19], v[8:9], s[10:11] op_sel_hi:[1,0]
	v_pk_add_f32 v[20:21], v[20:21], v[22:23]
	v_pk_add_f32 v[22:23], v[12:13], v[14:15] op_sel:[0,1] op_sel_hi:[1,0] neg_lo:[0,1] neg_hi:[0,1]
	v_pk_add_f32 v[12:13], v[12:13], v[14:15] op_sel:[0,1] op_sel_hi:[1,0]
	v_pk_add_f32 v[2:3], v[2:3], v[16:17]
	v_pk_add_f32 v[12:13], v[12:13], v[18:19] op_sel:[0,1] op_sel_hi:[1,0]
	v_pk_add_f32 v[14:15], v[22:23], v[18:19] op_sel:[0,1] op_sel_hi:[1,0] neg_lo:[0,1] neg_hi:[0,1]
	v_pk_add_f32 v[2:3], v[2:3], v[4:5]
	v_mov_b32_e32 v18, v14
	v_mov_b32_e32 v19, v13
	v_pk_add_f32 v[2:3], v[2:3], v[0:1]
	v_pk_fma_f32 v[18:19], v[20:21], s[0:1], v[18:19] op_sel_hi:[1,0,1]
	ds_write2_b64 v58, v[2:3], v[18:19] offset1:13
	v_pk_add_f32 v[2:3], v[16:17], v[6:7] neg_lo:[0,1] neg_hi:[0,1]
	v_pk_add_f32 v[4:5], v[4:5], v[0:1] neg_lo:[0,1] neg_hi:[0,1]
	v_pk_add_f32 v[0:1], v[6:7], v[0:1]
	v_pk_add_f32 v[2:3], v[2:3], v[4:5]
	v_pk_fma_f32 v[0:1], v[0:1], 0.5, v[54:55] op_sel_hi:[1,0,1] neg_lo:[1,0,0] neg_hi:[1,0,0]
	v_pk_mul_f32 v[4:5], v[8:9], s[8:9] op_sel_hi:[1,0]
	v_pk_mul_f32 v[6:7], v[10:11], s[10:11] op_sel_hi:[1,0]
	v_pk_add_f32 v[8:9], v[0:1], v[4:5] op_sel:[0,1] op_sel_hi:[1,0]
	v_pk_add_f32 v[0:1], v[0:1], v[4:5] op_sel:[0,1] op_sel_hi:[1,0] neg_lo:[0,1] neg_hi:[0,1]
	v_pk_add_f32 v[4:5], v[8:9], v[6:7] op_sel:[0,1] op_sel_hi:[1,0] neg_lo:[0,1] neg_hi:[0,1]
	v_pk_add_f32 v[0:1], v[0:1], v[6:7] op_sel:[0,1] op_sel_hi:[1,0]
	v_mov_b32_e32 v6, v4
	v_mov_b32_e32 v7, v1
	;; [unrolled: 1-line block ×3, first 2 shown]
	v_pk_fma_f32 v[6:7], v[2:3], s[0:1], v[6:7] op_sel_hi:[1,0,1]
	v_pk_fma_f32 v[0:1], v[2:3], s[0:1], v[0:1] op_sel_hi:[1,0,1]
	v_mov_b32_e32 v13, v15
	ds_write2_b64 v58, v[6:7], v[0:1] offset0:26 offset1:39
	v_pk_fma_f32 v[0:1], v[20:21], s[0:1], v[12:13] op_sel_hi:[1,0,1]
	ds_write_b64 v58, v[0:1] offset:416
.LBB0_9:
	s_or_b64 exec, exec, s[12:13]
	v_add_u32_e32 v55, 0x800, v91
	s_waitcnt lgkmcnt(0)
	s_barrier
	ds_read2_b64 v[0:3], v91 offset1:65
	ds_read2_b64 v[8:11], v55 offset0:4 offset1:69
	ds_read2_b64 v[12:15], v55 offset0:134 offset1:199
	v_add_u32_e32 v54, 0x1000, v91
	ds_read2_b64 v[16:19], v54 offset0:8 offset1:73
	ds_read2_b64 v[20:23], v54 offset0:138 offset1:203
	ds_read_b64 v[24:25], v91 offset:6240
	v_mov_b32_e32 v4, s2
	s_waitcnt lgkmcnt(4)
	v_pk_mul_f32 v[26:27], v[134:135], v[8:9]
	v_mad_u64_u32 v[6:7], s[0:1], s6, v90, 0
	v_pk_fma_f32 v[56:57], v[30:31], v[8:9], v[26:27] op_sel:[0,0,1] op_sel_hi:[1,1,0]
	v_pk_fma_f32 v[8:9], v[30:31], v[8:9], v[26:27] op_sel:[0,0,1] op_sel_hi:[1,1,0] neg_lo:[0,0,1] neg_hi:[0,0,1]
	s_mov_b32 s2, 0xbeedf032
	v_mov_b32_e32 v57, v9
	v_pk_mul_f32 v[8:9], v[140:141], v[10:11]
	s_mov_b32 s0, 0x3f62ad3f
	v_pk_fma_f32 v[26:27], v[40:41], v[10:11], v[8:9] op_sel:[0,0,1] op_sel_hi:[1,1,0]
	v_pk_fma_f32 v[8:9], v[40:41], v[10:11], v[8:9] op_sel:[0,0,1] op_sel_hi:[1,1,0] neg_lo:[0,0,1] neg_hi:[0,0,1]
	s_mov_b32 s16, 0xbf52af12
	v_mov_b32_e32 v27, v9
	s_waitcnt lgkmcnt(3)
	v_pk_mul_f32 v[8:9], v[132:133], v[12:13]
	s_mov_b32 s24, 0xbf7e222b
	v_pk_fma_f32 v[30:31], v[42:43], v[12:13], v[8:9] op_sel:[0,0,1] op_sel_hi:[1,1,0]
	v_pk_fma_f32 v[8:9], v[42:43], v[12:13], v[8:9] op_sel:[0,0,1] op_sel_hi:[1,1,0] neg_lo:[0,0,1] neg_hi:[0,0,1]
	s_mov_b32 s6, 0x3df6dbef
	v_mov_b32_e32 v31, v9
	v_pk_mul_f32 v[8:9], v[138:139], v[14:15]
	s_mov_b32 s10, 0xbf6f5d39
	v_pk_fma_f32 v[40:41], v[36:37], v[14:15], v[8:9] op_sel:[0,0,1] op_sel_hi:[1,1,0]
	v_pk_fma_f32 v[8:9], v[36:37], v[14:15], v[8:9] op_sel:[0,0,1] op_sel_hi:[1,1,0] neg_lo:[0,0,1] neg_hi:[0,0,1]
	s_mov_b32 s8, 0xbeb58ec6
	v_mov_b32_e32 v41, v9
	s_waitcnt lgkmcnt(2)
	v_pk_mul_f32 v[8:9], v[128:129], v[16:17]
	s_mov_b32 s14, 0xbf29c268
	v_pk_fma_f32 v[36:37], v[38:39], v[16:17], v[8:9] op_sel:[0,0,1] op_sel_hi:[1,1,0]
	v_pk_fma_f32 v[8:9], v[38:39], v[16:17], v[8:9] op_sel:[0,0,1] op_sel_hi:[1,1,0] neg_lo:[0,0,1] neg_hi:[0,0,1]
	s_mov_b32 s12, 0xbf3f9e67
	v_mov_b32_e32 v37, v9
	v_pk_mul_f32 v[8:9], v[136:137], v[18:19]
	v_pk_add_f32 v[66:67], v[26:27], v[36:37] neg_lo:[0,1] neg_hi:[0,1]
	v_pk_fma_f32 v[38:39], v[48:49], v[18:19], v[8:9] op_sel:[0,0,1] op_sel_hi:[1,1,0]
	v_pk_fma_f32 v[8:9], v[48:49], v[18:19], v[8:9] op_sel:[0,0,1] op_sel_hi:[1,1,0] neg_lo:[0,0,1] neg_hi:[0,0,1]
	v_pk_mul_f32 v[18:19], v[32:33], v[2:3] op_sel:[1,0]
	v_mov_b32_e32 v39, v9
	s_waitcnt lgkmcnt(1)
	v_pk_mul_f32 v[8:9], v[130:131], v[20:21]
	v_pk_add_f32 v[62:63], v[56:57], v[38:39]
	v_pk_fma_f32 v[14:15], v[50:51], v[20:21], v[8:9] op_sel:[0,0,1] op_sel_hi:[1,1,0]
	v_pk_fma_f32 v[8:9], v[50:51], v[20:21], v[8:9] op_sel:[0,0,1] op_sel_hi:[1,1,0] neg_lo:[0,0,1] neg_hi:[0,0,1]
	v_pk_fma_f32 v[20:21], v[32:33], v[2:3], v[18:19] op_sel:[0,0,1] op_sel_hi:[1,1,0]
	v_mov_b32_e32 v15, v9
	v_pk_mul_f32 v[8:9], v[52:53], v[22:23]
	v_pk_fma_f32 v[2:3], v[32:33], v[2:3], v[18:19] op_sel:[0,0,1] op_sel_hi:[0,1,0] neg_lo:[0,0,1] neg_hi:[0,0,1]
	v_pk_fma_f32 v[12:13], v[44:45], v[22:23], v[8:9] op_sel:[0,0,1] op_sel_hi:[1,1,0]
	v_pk_fma_f32 v[8:9], v[44:45], v[22:23], v[8:9] op_sel:[0,0,1] op_sel_hi:[1,1,0] neg_lo:[0,0,1] neg_hi:[0,0,1]
	v_mov_b32_e32 v21, v3
	v_mov_b32_e32 v13, v9
	s_waitcnt lgkmcnt(0)
	v_pk_mul_f32 v[8:9], v[126:127], v[24:25]
	v_pk_add_f32 v[64:65], v[26:27], v[36:37]
	v_pk_fma_f32 v[16:17], v[46:47], v[24:25], v[8:9] op_sel:[0,0,1] op_sel_hi:[1,1,0]
	v_pk_fma_f32 v[8:9], v[46:47], v[24:25], v[8:9] op_sel:[0,0,1] op_sel_hi:[1,1,0] neg_lo:[0,0,1] neg_hi:[0,0,1]
	v_pk_add_f32 v[70:71], v[30:31], v[40:41] neg_lo:[0,1] neg_hi:[0,1]
	v_mov_b32_e32 v17, v9
	ds_read2_b64 v[8:11], v91 offset0:130 offset1:195
	v_pk_add_f32 v[48:49], v[20:21], v[16:17] neg_lo:[0,1] neg_hi:[0,1]
	v_pk_add_f32 v[46:47], v[20:21], v[16:17]
	s_mov_b32 s20, 0xbe750f2a
	v_pk_add_f32 v[68:69], v[30:31], v[40:41]
	s_waitcnt lgkmcnt(0)
	v_pk_mul_f32 v[2:3], v[34:35], v[8:9] op_sel:[1,0]
	s_mov_b32 s18, 0xbf788fa5
	v_pk_fma_f32 v[18:19], v[34:35], v[8:9], v[2:3] op_sel:[0,0,1] op_sel_hi:[1,1,0]
	v_pk_fma_f32 v[2:3], v[34:35], v[8:9], v[2:3] op_sel:[0,0,1] op_sel_hi:[0,1,0] neg_lo:[0,0,1] neg_hi:[0,0,1]
	v_mov_b32_e32 v19, v3
	v_pk_mul_f32 v[2:3], v[28:29], v[10:11] op_sel:[1,0]
	v_pk_mul_f32 v[8:9], v[48:49], s[2:3] op_sel_hi:[1,0]
	v_pk_fma_f32 v[22:23], v[28:29], v[10:11], v[2:3] op_sel:[0,0,1] op_sel_hi:[1,1,0]
	v_pk_fma_f32 v[2:3], v[28:29], v[10:11], v[2:3] op_sel:[0,0,1] op_sel_hi:[0,1,0] neg_lo:[0,0,1] neg_hi:[0,0,1]
	v_mov_b32_e32 v23, v3
	v_pk_add_f32 v[2:3], v[0:1], v[20:21]
	v_pk_add_f32 v[52:53], v[18:19], v[12:13] neg_lo:[0,1] neg_hi:[0,1]
	v_pk_add_f32 v[2:3], v[2:3], v[18:19]
	v_pk_add_f32 v[50:51], v[18:19], v[12:13]
	;; [unrolled: 1-line block ×3, first 2 shown]
	s_mov_b32 s2, 0x3f116cb1
	v_pk_add_f32 v[2:3], v[2:3], v[56:57]
	v_pk_add_f32 v[60:61], v[22:23], v[14:15] neg_lo:[0,1] neg_hi:[0,1]
	v_pk_add_f32 v[2:3], v[2:3], v[26:27]
	v_pk_add_f32 v[58:59], v[22:23], v[14:15]
	;; [unrolled: 1-line block ×3, first 2 shown]
	v_pk_add_f32 v[56:57], v[56:57], v[38:39] neg_lo:[0,1] neg_hi:[0,1]
	v_pk_add_f32 v[2:3], v[2:3], v[40:41]
	s_mov_b32 s28, 0x3f29c268
	v_pk_add_f32 v[2:3], v[2:3], v[36:37]
	v_pk_mul_f32 v[36:37], v[52:53], s[10:11] op_sel_hi:[1,0]
	v_pk_add_f32 v[2:3], v[2:3], v[38:39]
	s_mov_b32 s22, 0x3f7e222b
	v_pk_add_f32 v[2:3], v[2:3], v[14:15]
	s_mov_b32 s26, 0x3eedf032
	v_pk_add_f32 v[2:3], v[2:3], v[12:13]
	v_pk_mul_f32 v[12:13], v[52:53], s[16:17] op_sel_hi:[1,0]
	v_pk_add_f32 v[32:33], v[2:3], v[16:17]
	v_pk_fma_f32 v[2:3], v[46:47], s[0:1], v[8:9] op_sel:[0,0,1] op_sel_hi:[1,0,0]
	v_pk_fma_f32 v[8:9], v[46:47], s[0:1], v[8:9] op_sel:[0,0,1] op_sel_hi:[1,0,0] neg_lo:[0,0,1] neg_hi:[0,0,1]
	v_mov_b32_e32 v10, v2
	v_mov_b32_e32 v11, v9
	v_pk_add_f32 v[16:17], v[0:1], v[10:11]
	v_pk_fma_f32 v[10:11], v[50:51], s[2:3], v[12:13] op_sel:[0,0,1] op_sel_hi:[1,0,0]
	v_pk_fma_f32 v[12:13], v[50:51], s[2:3], v[12:13] op_sel:[0,0,1] op_sel_hi:[1,0,0] neg_lo:[0,0,1] neg_hi:[0,0,1]
	v_mov_b32_e32 v18, v10
	v_mov_b32_e32 v19, v13
	v_pk_add_f32 v[18:19], v[18:19], v[16:17]
	v_pk_mul_f32 v[16:17], v[60:61], s[24:25] op_sel_hi:[1,0]
	v_pk_mul_f32 v[112:113], v[52:53], s[20:21] op_sel_hi:[1,0]
	v_pk_fma_f32 v[14:15], v[58:59], s[6:7], v[16:17] op_sel:[0,0,1] op_sel_hi:[1,0,0]
	v_pk_fma_f32 v[16:17], v[58:59], s[6:7], v[16:17] op_sel:[0,0,1] op_sel_hi:[1,0,0] neg_lo:[0,0,1] neg_hi:[0,0,1]
	v_mov_b32_e32 v20, v14
	v_mov_b32_e32 v21, v17
	v_pk_add_f32 v[22:23], v[20:21], v[18:19]
	v_pk_mul_f32 v[20:21], v[56:57], s[10:11] op_sel_hi:[1,0]
	v_pk_fma_f32 v[114:115], v[50:51], s[18:19], v[112:113] op_sel:[0,0,1] op_sel_hi:[1,0,0]
	v_pk_fma_f32 v[18:19], v[62:63], s[8:9], v[20:21] op_sel:[0,0,1] op_sel_hi:[1,0,0]
	v_pk_fma_f32 v[20:21], v[62:63], s[8:9], v[20:21] op_sel:[0,0,1] op_sel_hi:[1,0,0] neg_lo:[0,0,1] neg_hi:[0,0,1]
	v_mov_b32_e32 v24, v18
	v_mov_b32_e32 v25, v21
	v_pk_add_f32 v[28:29], v[24:25], v[22:23]
	v_pk_mul_f32 v[24:25], v[66:67], s[14:15] op_sel_hi:[1,0]
	v_pk_fma_f32 v[112:113], v[50:51], s[18:19], v[112:113] op_sel:[0,0,1] op_sel_hi:[1,0,0] neg_lo:[0,0,1] neg_hi:[0,0,1]
	v_pk_fma_f32 v[22:23], v[64:65], s[12:13], v[24:25] op_sel:[0,0,1] op_sel_hi:[1,0,0]
	v_pk_fma_f32 v[24:25], v[64:65], s[12:13], v[24:25] op_sel:[0,0,1] op_sel_hi:[1,0,0] neg_lo:[0,0,1] neg_hi:[0,0,1]
	v_mov_b32_e32 v26, v22
	v_mov_b32_e32 v27, v25
	v_pk_add_f32 v[34:35], v[26:27], v[28:29]
	v_pk_mul_f32 v[28:29], v[70:71], s[20:21] op_sel_hi:[1,0]
	v_mov_b32_e32 v116, v114
	v_pk_fma_f32 v[26:27], v[68:69], s[18:19], v[28:29] op_sel:[0,0,1] op_sel_hi:[1,0,0]
	v_pk_fma_f32 v[28:29], v[68:69], s[18:19], v[28:29] op_sel:[0,0,1] op_sel_hi:[1,0,0] neg_lo:[0,0,1] neg_hi:[0,0,1]
	v_mov_b32_e32 v30, v26
	v_mov_b32_e32 v31, v29
	v_pk_add_f32 v[30:31], v[30:31], v[34:35]
	ds_write2_b64 v91, v[32:33], v[30:31] offset1:65
	v_pk_mul_f32 v[32:33], v[48:49], s[16:17] op_sel_hi:[1,0]
	v_mov_b32_e32 v117, v113
	v_pk_fma_f32 v[30:31], v[46:47], s[2:3], v[32:33] op_sel:[0,0,1] op_sel_hi:[1,0,0]
	v_pk_fma_f32 v[32:33], v[46:47], s[2:3], v[32:33] op_sel:[0,0,1] op_sel_hi:[1,0,0] neg_lo:[0,0,1] neg_hi:[0,0,1]
	v_mov_b32_e32 v34, v30
	v_mov_b32_e32 v35, v33
	v_pk_add_f32 v[38:39], v[0:1], v[34:35]
	v_pk_fma_f32 v[34:35], v[50:51], s[8:9], v[36:37] op_sel:[0,0,1] op_sel_hi:[1,0,0]
	v_pk_fma_f32 v[36:37], v[50:51], s[8:9], v[36:37] op_sel:[0,0,1] op_sel_hi:[1,0,0] neg_lo:[0,0,1] neg_hi:[0,0,1]
	v_mov_b32_e32 v40, v34
	v_mov_b32_e32 v41, v37
	v_pk_add_f32 v[42:43], v[40:41], v[38:39]
	v_pk_mul_f32 v[40:41], v[60:61], s[20:21] op_sel_hi:[1,0]
	s_mov_b32 s30, 0x3f6f5d39
	v_pk_fma_f32 v[38:39], v[58:59], s[18:19], v[40:41] op_sel:[0,0,1] op_sel_hi:[1,0,0]
	v_pk_fma_f32 v[40:41], v[58:59], s[18:19], v[40:41] op_sel:[0,0,1] op_sel_hi:[1,0,0] neg_lo:[0,0,1] neg_hi:[0,0,1]
	v_mov_b32_e32 v44, v38
	v_mov_b32_e32 v45, v41
	v_pk_add_f32 v[72:73], v[44:45], v[42:43]
	v_pk_mul_f32 v[44:45], v[56:57], s[28:29] op_sel_hi:[1,0]
	v_pk_mul_f32 v[134:135], v[52:53], s[28:29] op_sel_hi:[1,0]
	v_pk_fma_f32 v[42:43], v[62:63], s[12:13], v[44:45] op_sel:[0,0,1] op_sel_hi:[1,0,0]
	v_pk_fma_f32 v[44:45], v[62:63], s[12:13], v[44:45] op_sel:[0,0,1] op_sel_hi:[1,0,0] neg_lo:[0,0,1] neg_hi:[0,0,1]
	v_mov_b32_e32 v74, v42
	v_mov_b32_e32 v75, v45
	v_pk_add_f32 v[72:73], v[74:75], v[72:73]
	v_pk_mul_f32 v[74:75], v[66:67], s[22:23] op_sel_hi:[1,0]
	v_pk_fma_f32 v[136:137], v[50:51], s[12:13], v[134:135] op_sel:[0,0,1] op_sel_hi:[1,0,0]
	v_pk_fma_f32 v[76:77], v[64:65], s[6:7], v[74:75] op_sel:[0,0,1] op_sel_hi:[1,0,0]
	v_pk_fma_f32 v[74:75], v[64:65], s[6:7], v[74:75] op_sel:[0,0,1] op_sel_hi:[1,0,0] neg_lo:[0,0,1] neg_hi:[0,0,1]
	v_mov_b32_e32 v78, v76
	v_mov_b32_e32 v79, v75
	v_pk_add_f32 v[72:73], v[78:79], v[72:73]
	v_pk_mul_f32 v[78:79], v[70:71], s[26:27] op_sel_hi:[1,0]
	v_pk_fma_f32 v[134:135], v[50:51], s[12:13], v[134:135] op_sel:[0,0,1] op_sel_hi:[1,0,0] neg_lo:[0,0,1] neg_hi:[0,0,1]
	v_pk_fma_f32 v[80:81], v[68:69], s[0:1], v[78:79] op_sel:[0,0,1] op_sel_hi:[1,0,0]
	v_pk_fma_f32 v[78:79], v[68:69], s[0:1], v[78:79] op_sel:[0,0,1] op_sel_hi:[1,0,0] neg_lo:[0,0,1] neg_hi:[0,0,1]
	v_mov_b32_e32 v94, v80
	v_mov_b32_e32 v95, v79
	v_pk_add_f32 v[72:73], v[94:95], v[72:73]
	v_pk_mul_f32 v[94:95], v[48:49], s[24:25] op_sel_hi:[1,0]
	v_mov_b32_e32 v138, v136
	v_pk_fma_f32 v[108:109], v[46:47], s[6:7], v[94:95] op_sel:[0,0,1] op_sel_hi:[1,0,0]
	v_pk_fma_f32 v[94:95], v[46:47], s[6:7], v[94:95] op_sel:[0,0,1] op_sel_hi:[1,0,0] neg_lo:[0,0,1] neg_hi:[0,0,1]
	v_mov_b32_e32 v110, v108
	v_mov_b32_e32 v111, v95
	v_pk_add_f32 v[110:111], v[0:1], v[110:111]
	v_mov_b32_e32 v139, v135
	v_pk_add_f32 v[110:111], v[116:117], v[110:111]
	v_pk_mul_f32 v[116:117], v[60:61], s[30:31] op_sel_hi:[1,0]
	s_mov_b32 s28, 0x3f52af12
	v_pk_fma_f32 v[118:119], v[58:59], s[8:9], v[116:117] op_sel:[0,0,1] op_sel_hi:[1,0,0]
	v_pk_fma_f32 v[116:117], v[58:59], s[8:9], v[116:117] op_sel:[0,0,1] op_sel_hi:[1,0,0] neg_lo:[0,0,1] neg_hi:[0,0,1]
	v_mov_b32_e32 v120, v118
	v_mov_b32_e32 v121, v117
	v_pk_add_f32 v[110:111], v[120:121], v[110:111]
	v_pk_mul_f32 v[120:121], v[56:57], s[26:27] op_sel_hi:[1,0]
	v_pk_mul_f32 v[160:161], v[52:53], s[22:23] op_sel_hi:[1,0]
	v_pk_fma_f32 v[122:123], v[62:63], s[0:1], v[120:121] op_sel:[0,0,1] op_sel_hi:[1,0,0]
	v_pk_fma_f32 v[120:121], v[62:63], s[0:1], v[120:121] op_sel:[0,0,1] op_sel_hi:[1,0,0] neg_lo:[0,0,1] neg_hi:[0,0,1]
	v_mov_b32_e32 v124, v122
	v_mov_b32_e32 v125, v121
	v_pk_add_f32 v[110:111], v[124:125], v[110:111]
	v_pk_mul_f32 v[124:125], v[66:67], s[16:17] op_sel_hi:[1,0]
	v_pk_fma_f32 v[162:163], v[50:51], s[6:7], v[160:161] op_sel:[0,0,1] op_sel_hi:[1,0,0]
	v_pk_fma_f32 v[126:127], v[64:65], s[2:3], v[124:125] op_sel:[0,0,1] op_sel_hi:[1,0,0]
	v_pk_fma_f32 v[124:125], v[64:65], s[2:3], v[124:125] op_sel:[0,0,1] op_sel_hi:[1,0,0] neg_lo:[0,0,1] neg_hi:[0,0,1]
	v_mov_b32_e32 v128, v126
	v_mov_b32_e32 v129, v125
	v_pk_add_f32 v[110:111], v[128:129], v[110:111]
	v_pk_mul_f32 v[128:129], v[70:71], s[14:15] op_sel_hi:[1,0]
	v_pk_fma_f32 v[160:161], v[50:51], s[6:7], v[160:161] op_sel:[0,0,1] op_sel_hi:[1,0,0] neg_lo:[0,0,1] neg_hi:[0,0,1]
	v_pk_fma_f32 v[130:131], v[68:69], s[12:13], v[128:129] op_sel:[0,0,1] op_sel_hi:[1,0,0]
	v_pk_fma_f32 v[128:129], v[68:69], s[12:13], v[128:129] op_sel:[0,0,1] op_sel_hi:[1,0,0] neg_lo:[0,0,1] neg_hi:[0,0,1]
	v_mov_b32_e32 v132, v130
	v_mov_b32_e32 v133, v129
	v_pk_add_f32 v[110:111], v[132:133], v[110:111]
	ds_write2_b64 v91, v[72:73], v[110:111] offset0:130 offset1:195
	v_pk_mul_f32 v[72:73], v[48:49], s[10:11] op_sel_hi:[1,0]
	v_mov_b32_e32 v164, v162
	v_pk_fma_f32 v[110:111], v[46:47], s[8:9], v[72:73] op_sel:[0,0,1] op_sel_hi:[1,0,0]
	v_pk_fma_f32 v[72:73], v[46:47], s[8:9], v[72:73] op_sel:[0,0,1] op_sel_hi:[1,0,0] neg_lo:[0,0,1] neg_hi:[0,0,1]
	v_mov_b32_e32 v132, v110
	v_mov_b32_e32 v133, v73
	v_pk_add_f32 v[132:133], v[0:1], v[132:133]
	v_mov_b32_e32 v165, v161
	v_pk_add_f32 v[132:133], v[138:139], v[132:133]
	v_pk_mul_f32 v[138:139], v[60:61], s[26:27] op_sel_hi:[1,0]
	v_pk_mul_f32 v[52:53], v[52:53], s[26:27] op_sel_hi:[1,0]
	v_pk_fma_f32 v[140:141], v[58:59], s[0:1], v[138:139] op_sel:[0,0,1] op_sel_hi:[1,0,0]
	v_pk_fma_f32 v[138:139], v[58:59], s[0:1], v[138:139] op_sel:[0,0,1] op_sel_hi:[1,0,0] neg_lo:[0,0,1] neg_hi:[0,0,1]
	v_mov_b32_e32 v142, v140
	v_mov_b32_e32 v143, v139
	v_pk_add_f32 v[132:133], v[142:143], v[132:133]
	v_pk_mul_f32 v[142:143], v[56:57], s[24:25] op_sel_hi:[1,0]
	s_mov_b32 s24, 0x3e750f2a
	v_pk_fma_f32 v[144:145], v[62:63], s[6:7], v[142:143] op_sel:[0,0,1] op_sel_hi:[1,0,0]
	v_pk_fma_f32 v[142:143], v[62:63], s[6:7], v[142:143] op_sel:[0,0,1] op_sel_hi:[1,0,0] neg_lo:[0,0,1] neg_hi:[0,0,1]
	v_mov_b32_e32 v146, v144
	v_mov_b32_e32 v147, v143
	v_pk_add_f32 v[132:133], v[146:147], v[132:133]
	v_pk_mul_f32 v[146:147], v[66:67], s[24:25] op_sel_hi:[1,0]
	v_mov_b32_e32 v73, v111
	v_pk_fma_f32 v[148:149], v[64:65], s[18:19], v[146:147] op_sel:[0,0,1] op_sel_hi:[1,0,0]
	v_pk_fma_f32 v[146:147], v[64:65], s[18:19], v[146:147] op_sel:[0,0,1] op_sel_hi:[1,0,0] neg_lo:[0,0,1] neg_hi:[0,0,1]
	v_mov_b32_e32 v150, v148
	v_mov_b32_e32 v151, v147
	v_pk_add_f32 v[132:133], v[150:151], v[132:133]
	v_pk_mul_f32 v[150:151], v[70:71], s[28:29] op_sel_hi:[1,0]
	v_mov_b32_e32 v161, v163
	v_pk_fma_f32 v[152:153], v[68:69], s[2:3], v[150:151] op_sel:[0,0,1] op_sel_hi:[1,0,0]
	v_pk_fma_f32 v[150:151], v[68:69], s[2:3], v[150:151] op_sel:[0,0,1] op_sel_hi:[1,0,0] neg_lo:[0,0,1] neg_hi:[0,0,1]
	v_mov_b32_e32 v154, v152
	v_mov_b32_e32 v155, v151
	v_pk_add_f32 v[132:133], v[154:155], v[132:133]
	v_pk_mul_f32 v[154:155], v[48:49], s[14:15] op_sel_hi:[1,0]
	v_pk_mul_f32 v[48:49], v[48:49], s[20:21] op_sel_hi:[1,0]
	v_pk_fma_f32 v[156:157], v[46:47], s[12:13], v[154:155] op_sel:[0,0,1] op_sel_hi:[1,0,0]
	v_pk_fma_f32 v[154:155], v[46:47], s[12:13], v[154:155] op_sel:[0,0,1] op_sel_hi:[1,0,0] neg_lo:[0,0,1] neg_hi:[0,0,1]
	v_mov_b32_e32 v158, v156
	v_mov_b32_e32 v159, v155
	v_pk_add_f32 v[158:159], v[0:1], v[158:159]
	v_mov_b32_e32 v155, v157
	v_pk_add_f32 v[158:159], v[164:165], v[158:159]
	v_pk_mul_f32 v[164:165], v[60:61], s[16:17] op_sel_hi:[1,0]
	v_mov_b32_e32 v135, v137
	v_pk_fma_f32 v[166:167], v[58:59], s[2:3], v[164:165] op_sel:[0,0,1] op_sel_hi:[1,0,0]
	v_pk_fma_f32 v[164:165], v[58:59], s[2:3], v[164:165] op_sel:[0,0,1] op_sel_hi:[1,0,0] neg_lo:[0,0,1] neg_hi:[0,0,1]
	v_mov_b32_e32 v168, v166
	v_mov_b32_e32 v169, v165
	v_pk_add_f32 v[158:159], v[168:169], v[158:159]
	v_pk_mul_f32 v[168:169], v[56:57], s[24:25] op_sel_hi:[1,0]
	v_pk_mul_f32 v[56:57], v[56:57], s[28:29] op_sel_hi:[1,0]
	v_pk_fma_f32 v[170:171], v[62:63], s[18:19], v[168:169] op_sel:[0,0,1] op_sel_hi:[1,0,0]
	v_pk_fma_f32 v[168:169], v[62:63], s[18:19], v[168:169] op_sel:[0,0,1] op_sel_hi:[1,0,0] neg_lo:[0,0,1] neg_hi:[0,0,1]
	v_mov_b32_e32 v172, v170
	v_mov_b32_e32 v173, v169
	v_pk_add_f32 v[158:159], v[172:173], v[158:159]
	v_pk_mul_f32 v[172:173], v[66:67], s[26:27] op_sel_hi:[1,0]
	v_mov_b32_e32 v165, v167
	v_pk_fma_f32 v[174:175], v[64:65], s[0:1], v[172:173] op_sel:[0,0,1] op_sel_hi:[1,0,0]
	v_pk_fma_f32 v[172:173], v[64:65], s[0:1], v[172:173] op_sel:[0,0,1] op_sel_hi:[1,0,0] neg_lo:[0,0,1] neg_hi:[0,0,1]
	v_mov_b32_e32 v176, v174
	v_mov_b32_e32 v177, v173
	v_pk_add_f32 v[158:159], v[176:177], v[158:159]
	v_pk_mul_f32 v[176:177], v[70:71], s[10:11] op_sel_hi:[1,0]
	v_mov_b32_e32 v139, v141
	v_pk_fma_f32 v[178:179], v[68:69], s[8:9], v[176:177] op_sel:[0,0,1] op_sel_hi:[1,0,0]
	v_pk_fma_f32 v[176:177], v[68:69], s[8:9], v[176:177] op_sel:[0,0,1] op_sel_hi:[1,0,0] neg_lo:[0,0,1] neg_hi:[0,0,1]
	v_mov_b32_e32 v180, v178
	v_mov_b32_e32 v181, v177
	v_pk_add_f32 v[158:159], v[180:181], v[158:159]
	ds_write2_b64 v55, v[132:133], v[158:159] offset0:4 offset1:69
	v_pk_fma_f32 v[132:133], v[46:47], s[18:19], v[48:49] op_sel:[0,0,1] op_sel_hi:[1,0,0]
	v_pk_fma_f32 v[46:47], v[46:47], s[18:19], v[48:49] op_sel:[0,0,1] op_sel_hi:[1,0,0] neg_lo:[0,0,1] neg_hi:[0,0,1]
	v_mov_b32_e32 v48, v132
	v_mov_b32_e32 v49, v47
	v_pk_fma_f32 v[158:159], v[50:51], s[0:1], v[52:53] op_sel:[0,0,1] op_sel_hi:[1,0,0]
	v_pk_fma_f32 v[50:51], v[50:51], s[0:1], v[52:53] op_sel:[0,0,1] op_sel_hi:[1,0,0] neg_lo:[0,0,1] neg_hi:[0,0,1]
	v_pk_add_f32 v[48:49], v[0:1], v[48:49]
	v_mov_b32_e32 v52, v158
	v_mov_b32_e32 v53, v51
	v_pk_add_f32 v[48:49], v[52:53], v[48:49]
	v_pk_mul_f32 v[52:53], v[60:61], s[14:15] op_sel_hi:[1,0]
	v_mov_b32_e32 v47, v133
	v_pk_fma_f32 v[60:61], v[58:59], s[12:13], v[52:53] op_sel:[0,0,1] op_sel_hi:[1,0,0]
	v_pk_fma_f32 v[52:53], v[58:59], s[12:13], v[52:53] op_sel:[0,0,1] op_sel_hi:[1,0,0] neg_lo:[0,0,1] neg_hi:[0,0,1]
	v_mov_b32_e32 v58, v60
	v_mov_b32_e32 v59, v53
	v_pk_add_f32 v[48:49], v[58:59], v[48:49]
	v_pk_fma_f32 v[58:59], v[62:63], s[2:3], v[56:57] op_sel:[0,0,1] op_sel_hi:[1,0,0]
	v_pk_fma_f32 v[56:57], v[62:63], s[2:3], v[56:57] op_sel:[0,0,1] op_sel_hi:[1,0,0] neg_lo:[0,0,1] neg_hi:[0,0,1]
	v_mov_b32_e32 v62, v58
	v_mov_b32_e32 v63, v57
	v_pk_add_f32 v[48:49], v[62:63], v[48:49]
	v_pk_mul_f32 v[62:63], v[66:67], s[10:11] op_sel_hi:[1,0]
	v_pk_add_f32 v[46:47], v[0:1], v[46:47]
	v_pk_fma_f32 v[66:67], v[64:65], s[8:9], v[62:63] op_sel:[0,0,1] op_sel_hi:[1,0,0]
	v_pk_fma_f32 v[62:63], v[64:65], s[8:9], v[62:63] op_sel:[0,0,1] op_sel_hi:[1,0,0] neg_lo:[0,0,1] neg_hi:[0,0,1]
	v_mov_b32_e32 v51, v159
	v_mov_b32_e32 v64, v66
	;; [unrolled: 1-line block ×3, first 2 shown]
	v_pk_add_f32 v[46:47], v[50:51], v[46:47]
	v_mov_b32_e32 v53, v61
	v_pk_add_f32 v[48:49], v[64:65], v[48:49]
	v_pk_mul_f32 v[64:65], v[70:71], s[22:23] op_sel_hi:[1,0]
	v_pk_add_f32 v[46:47], v[52:53], v[46:47]
	v_mov_b32_e32 v57, v59
	v_pk_fma_f32 v[70:71], v[68:69], s[6:7], v[64:65] op_sel:[0,0,1] op_sel_hi:[1,0,0]
	v_pk_fma_f32 v[64:65], v[68:69], s[6:7], v[64:65] op_sel:[0,0,1] op_sel_hi:[1,0,0] neg_lo:[0,0,1] neg_hi:[0,0,1]
	v_pk_add_f32 v[46:47], v[56:57], v[46:47]
	v_mov_b32_e32 v63, v67
	v_mov_b32_e32 v68, v70
	;; [unrolled: 1-line block ×3, first 2 shown]
	v_pk_add_f32 v[46:47], v[62:63], v[46:47]
	v_mov_b32_e32 v65, v71
	v_pk_add_f32 v[48:49], v[68:69], v[48:49]
	v_pk_add_f32 v[46:47], v[64:65], v[46:47]
	ds_write2_b64 v55, v[48:49], v[46:47] offset0:134 offset1:199
	v_pk_add_f32 v[46:47], v[0:1], v[154:155]
	v_pk_add_f32 v[48:49], v[0:1], v[72:73]
	;; [unrolled: 1-line block ×5, first 2 shown]
	v_mov_b32_e32 v169, v171
	v_pk_add_f32 v[48:49], v[138:139], v[48:49]
	v_mov_b32_e32 v143, v145
	v_pk_add_f32 v[46:47], v[168:169], v[46:47]
	;; [unrolled: 2-line block ×6, first 2 shown]
	v_pk_add_f32 v[48:49], v[150:151], v[48:49]
	v_mov_b32_e32 v95, v109
	v_mov_b32_e32 v33, v31
	;; [unrolled: 1-line block ×3, first 2 shown]
	ds_write2_b64 v54, v[46:47], v[48:49] offset0:8 offset1:73
	v_pk_add_f32 v[46:47], v[0:1], v[94:95]
	v_mov_b32_e32 v113, v115
	v_pk_add_f32 v[30:31], v[0:1], v[32:33]
	v_mov_b32_e32 v37, v35
	;; [unrolled: 2-line block ×15, first 2 shown]
	v_pk_add_f32 v[46:47], v[128:129], v[46:47]
	v_pk_add_f32 v[30:31], v[78:79], v[30:31]
	;; [unrolled: 1-line block ×3, first 2 shown]
	ds_write2_b64 v54, v[46:47], v[30:31] offset0:138 offset1:203
	ds_write_b64 v91, v[0:1] offset:6240
	s_waitcnt lgkmcnt(0)
	s_barrier
	ds_read2_b64 v[0:3], v91 offset1:65
	v_mov_b32_e32 v8, v7
	v_mad_u64_u32 v[8:9], s[0:1], s7, v90, v[8:9]
	v_mov_b32_e32 v7, v8
	s_waitcnt lgkmcnt(0)
	v_mul_f32_e32 v8, v107, v1
	v_fmac_f32_e32 v8, v106, v0
	v_mul_f32_e32 v0, v107, v0
	s_mov_b32 s0, 0x622898b1
	v_fma_f32 v0, v106, v1, -v0
	v_cvt_f64_f32_e32 v[8:9], v8
	s_mov_b32 s1, 0x3f5363ac
	v_cvt_f64_f32_e32 v[0:1], v0
	v_mul_f64 v[8:9], v[8:9], s[0:1]
	v_mul_f64 v[0:1], v[0:1], s[0:1]
	v_accvgpr_read_b32 v12, a4
	v_mov_b32_e32 v5, s3
	v_cvt_f32_f64_e32 v8, v[8:9]
	v_cvt_f32_f64_e32 v9, v[0:1]
	v_mad_u64_u32 v[0:1], s[2:3], s4, v12, 0
	v_mov_b32_e32 v10, v1
	v_mad_u64_u32 v[10:11], s[2:3], s5, v12, v[10:11]
	v_mov_b32_e32 v1, v10
	v_lshl_add_u64 v[4:5], v[6:7], 3, v[4:5]
	v_lshl_add_u64 v[4:5], v[0:1], 3, v[4:5]
	v_mul_f32_e32 v0, v103, v3
	v_fmac_f32_e32 v0, v102, v2
	v_cvt_f64_f32_e32 v[0:1], v0
	v_mul_f64 v[0:1], v[0:1], s[0:1]
	v_cvt_f32_f64_e32 v6, v[0:1]
	v_mul_f32_e32 v0, v103, v2
	v_fma_f32 v0, v102, v3, -v0
	v_cvt_f64_f32_e32 v[0:1], v0
	v_mul_f64 v[0:1], v[0:1], s[0:1]
	v_cvt_f32_f64_e32 v7, v[0:1]
	ds_read2_b64 v[0:3], v91 offset0:130 offset1:195
	global_store_dwordx2 v[4:5], v[8:9], off
	v_mov_b32_e32 v8, 0x208
	v_mad_u64_u32 v[4:5], s[2:3], s4, v8, v[4:5]
	s_mul_i32 s2, s5, 0x208
	s_nop 0
	v_add_u32_e32 v5, s2, v5
	global_store_dwordx2 v[4:5], v[6:7], off
	s_waitcnt lgkmcnt(0)
	v_mul_f32_e32 v6, v99, v1
	v_fmac_f32_e32 v6, v98, v0
	v_mul_f32_e32 v0, v99, v0
	v_fma_f32 v0, v98, v1, -v0
	v_cvt_f64_f32_e32 v[6:7], v6
	v_cvt_f64_f32_e32 v[0:1], v0
	v_mul_f64 v[6:7], v[6:7], s[0:1]
	v_mul_f64 v[0:1], v[0:1], s[0:1]
	v_cvt_f32_f64_e32 v6, v[6:7]
	v_cvt_f32_f64_e32 v7, v[0:1]
	v_mul_f32_e32 v0, v97, v3
	v_fmac_f32_e32 v0, v96, v2
	v_mad_u64_u32 v[4:5], s[6:7], s4, v8, v[4:5]
	v_cvt_f64_f32_e32 v[0:1], v0
	v_add_u32_e32 v5, s2, v5
	v_mul_f64 v[0:1], v[0:1], s[0:1]
	global_store_dwordx2 v[4:5], v[6:7], off
	v_cvt_f32_f64_e32 v6, v[0:1]
	v_mul_f32_e32 v0, v97, v2
	v_fma_f32 v0, v96, v3, -v0
	v_cvt_f64_f32_e32 v[0:1], v0
	v_mul_f64 v[0:1], v[0:1], s[0:1]
	v_cvt_f32_f64_e32 v7, v[0:1]
	ds_read2_b64 v[0:3], v55 offset0:4 offset1:69
	v_mad_u64_u32 v[4:5], s[6:7], s4, v8, v[4:5]
	v_add_u32_e32 v5, s2, v5
	global_store_dwordx2 v[4:5], v[6:7], off
	s_waitcnt lgkmcnt(0)
	v_mul_f32_e32 v6, v105, v1
	v_fmac_f32_e32 v6, v104, v0
	v_mul_f32_e32 v0, v105, v0
	v_fma_f32 v0, v104, v1, -v0
	v_cvt_f64_f32_e32 v[6:7], v6
	v_cvt_f64_f32_e32 v[0:1], v0
	v_mul_f64 v[6:7], v[6:7], s[0:1]
	v_mul_f64 v[0:1], v[0:1], s[0:1]
	v_cvt_f32_f64_e32 v6, v[6:7]
	v_cvt_f32_f64_e32 v7, v[0:1]
	v_mul_f32_e32 v0, v101, v3
	v_fmac_f32_e32 v0, v100, v2
	v_mad_u64_u32 v[4:5], s[6:7], s4, v8, v[4:5]
	v_cvt_f64_f32_e32 v[0:1], v0
	v_add_u32_e32 v5, s2, v5
	v_mul_f64 v[0:1], v[0:1], s[0:1]
	global_store_dwordx2 v[4:5], v[6:7], off
	v_cvt_f32_f64_e32 v6, v[0:1]
	v_mul_f32_e32 v0, v101, v2
	v_fma_f32 v0, v100, v3, -v0
	v_cvt_f64_f32_e32 v[0:1], v0
	v_mul_f64 v[0:1], v[0:1], s[0:1]
	v_cvt_f32_f64_e32 v7, v[0:1]
	ds_read2_b64 v[0:3], v55 offset0:134 offset1:199
	v_mad_u64_u32 v[4:5], s[6:7], s4, v8, v[4:5]
	;; [unrolled: 28-line block ×4, first 2 shown]
	v_add_u32_e32 v5, s2, v5
	global_store_dwordx2 v[4:5], v[6:7], off
	s_waitcnt lgkmcnt(0)
	v_mul_f32_e32 v6, v83, v1
	v_fmac_f32_e32 v6, v82, v0
	v_mul_f32_e32 v0, v83, v0
	v_fma_f32 v0, v82, v1, -v0
	v_cvt_f64_f32_e32 v[6:7], v6
	v_cvt_f64_f32_e32 v[0:1], v0
	v_mul_f64 v[6:7], v[6:7], s[0:1]
	v_mul_f64 v[0:1], v[0:1], s[0:1]
	v_cvt_f32_f64_e32 v6, v[6:7]
	v_cvt_f32_f64_e32 v7, v[0:1]
	v_mad_u64_u32 v[0:1], s[6:7], s4, v8, v[4:5]
	v_add_u32_e32 v1, s2, v1
	global_store_dwordx2 v[0:1], v[6:7], off
	v_accvgpr_read_b32 v7, a3
	v_accvgpr_read_b32 v6, a2
	v_mul_f32_e32 v4, v7, v3
	v_fmac_f32_e32 v4, v6, v2
	v_mul_f32_e32 v2, v7, v2
	v_fma_f32 v2, v6, v3, -v2
	v_cvt_f64_f32_e32 v[4:5], v4
	v_cvt_f64_f32_e32 v[2:3], v2
	v_mul_f64 v[4:5], v[4:5], s[0:1]
	v_mul_f64 v[2:3], v[2:3], s[0:1]
	v_cvt_f32_f64_e32 v4, v[4:5]
	v_cvt_f32_f64_e32 v5, v[2:3]
	ds_read_b64 v[2:3], v91 offset:6240
	v_mad_u64_u32 v[0:1], s[6:7], s4, v8, v[0:1]
	v_add_u32_e32 v1, s2, v1
	v_accvgpr_read_b32 v7, a1
	global_store_dwordx2 v[0:1], v[4:5], off
	v_accvgpr_read_b32 v6, a0
	s_waitcnt lgkmcnt(0)
	v_mul_f32_e32 v4, v7, v3
	v_fmac_f32_e32 v4, v6, v2
	v_mul_f32_e32 v2, v7, v2
	v_fma_f32 v2, v6, v3, -v2
	v_cvt_f64_f32_e32 v[4:5], v4
	v_cvt_f64_f32_e32 v[2:3], v2
	v_mul_f64 v[4:5], v[4:5], s[0:1]
	v_mul_f64 v[2:3], v[2:3], s[0:1]
	v_mad_u64_u32 v[0:1], s[0:1], s4, v8, v[0:1]
	v_cvt_f32_f64_e32 v4, v[4:5]
	v_cvt_f32_f64_e32 v5, v[2:3]
	v_add_u32_e32 v1, s2, v1
	global_store_dwordx2 v[0:1], v[4:5], off
.LBB0_10:
	s_endpgm
	.section	.rodata,"a",@progbits
	.p2align	6, 0x0
	.amdhsa_kernel bluestein_single_back_len845_dim1_sp_op_CI_CI
		.amdhsa_group_segment_fixed_size 20280
		.amdhsa_private_segment_fixed_size 0
		.amdhsa_kernarg_size 104
		.amdhsa_user_sgpr_count 2
		.amdhsa_user_sgpr_dispatch_ptr 0
		.amdhsa_user_sgpr_queue_ptr 0
		.amdhsa_user_sgpr_kernarg_segment_ptr 1
		.amdhsa_user_sgpr_dispatch_id 0
		.amdhsa_user_sgpr_kernarg_preload_length 0
		.amdhsa_user_sgpr_kernarg_preload_offset 0
		.amdhsa_user_sgpr_private_segment_size 0
		.amdhsa_uses_dynamic_stack 0
		.amdhsa_enable_private_segment 0
		.amdhsa_system_sgpr_workgroup_id_x 1
		.amdhsa_system_sgpr_workgroup_id_y 0
		.amdhsa_system_sgpr_workgroup_id_z 0
		.amdhsa_system_sgpr_workgroup_info 0
		.amdhsa_system_vgpr_workitem_id 0
		.amdhsa_next_free_vgpr 275
		.amdhsa_next_free_sgpr 58
		.amdhsa_accum_offset 256
		.amdhsa_reserve_vcc 1
		.amdhsa_float_round_mode_32 0
		.amdhsa_float_round_mode_16_64 0
		.amdhsa_float_denorm_mode_32 3
		.amdhsa_float_denorm_mode_16_64 3
		.amdhsa_dx10_clamp 1
		.amdhsa_ieee_mode 1
		.amdhsa_fp16_overflow 0
		.amdhsa_tg_split 0
		.amdhsa_exception_fp_ieee_invalid_op 0
		.amdhsa_exception_fp_denorm_src 0
		.amdhsa_exception_fp_ieee_div_zero 0
		.amdhsa_exception_fp_ieee_overflow 0
		.amdhsa_exception_fp_ieee_underflow 0
		.amdhsa_exception_fp_ieee_inexact 0
		.amdhsa_exception_int_div_zero 0
	.end_amdhsa_kernel
	.text
.Lfunc_end0:
	.size	bluestein_single_back_len845_dim1_sp_op_CI_CI, .Lfunc_end0-bluestein_single_back_len845_dim1_sp_op_CI_CI
                                        ; -- End function
	.section	.AMDGPU.csdata,"",@progbits
; Kernel info:
; codeLenInByte = 17152
; NumSgprs: 64
; NumVgprs: 256
; NumAgprs: 19
; TotalNumVgprs: 275
; ScratchSize: 0
; MemoryBound: 0
; FloatMode: 240
; IeeeMode: 1
; LDSByteSize: 20280 bytes/workgroup (compile time only)
; SGPRBlocks: 7
; VGPRBlocks: 34
; NumSGPRsForWavesPerEU: 64
; NumVGPRsForWavesPerEU: 275
; AccumOffset: 256
; Occupancy: 1
; WaveLimiterHint : 1
; COMPUTE_PGM_RSRC2:SCRATCH_EN: 0
; COMPUTE_PGM_RSRC2:USER_SGPR: 2
; COMPUTE_PGM_RSRC2:TRAP_HANDLER: 0
; COMPUTE_PGM_RSRC2:TGID_X_EN: 1
; COMPUTE_PGM_RSRC2:TGID_Y_EN: 0
; COMPUTE_PGM_RSRC2:TGID_Z_EN: 0
; COMPUTE_PGM_RSRC2:TIDIG_COMP_CNT: 0
; COMPUTE_PGM_RSRC3_GFX90A:ACCUM_OFFSET: 63
; COMPUTE_PGM_RSRC3_GFX90A:TG_SPLIT: 0
	.text
	.p2alignl 6, 3212836864
	.fill 256, 4, 3212836864
	.type	__hip_cuid_621677c93b6781f7,@object ; @__hip_cuid_621677c93b6781f7
	.section	.bss,"aw",@nobits
	.globl	__hip_cuid_621677c93b6781f7
__hip_cuid_621677c93b6781f7:
	.byte	0                               ; 0x0
	.size	__hip_cuid_621677c93b6781f7, 1

	.ident	"AMD clang version 19.0.0git (https://github.com/RadeonOpenCompute/llvm-project roc-6.4.0 25133 c7fe45cf4b819c5991fe208aaa96edf142730f1d)"
	.section	".note.GNU-stack","",@progbits
	.addrsig
	.addrsig_sym __hip_cuid_621677c93b6781f7
	.amdgpu_metadata
---
amdhsa.kernels:
  - .agpr_count:     19
    .args:
      - .actual_access:  read_only
        .address_space:  global
        .offset:         0
        .size:           8
        .value_kind:     global_buffer
      - .actual_access:  read_only
        .address_space:  global
        .offset:         8
        .size:           8
        .value_kind:     global_buffer
      - .actual_access:  read_only
        .address_space:  global
        .offset:         16
        .size:           8
        .value_kind:     global_buffer
      - .actual_access:  read_only
        .address_space:  global
        .offset:         24
        .size:           8
        .value_kind:     global_buffer
      - .actual_access:  read_only
        .address_space:  global
        .offset:         32
        .size:           8
        .value_kind:     global_buffer
      - .offset:         40
        .size:           8
        .value_kind:     by_value
      - .address_space:  global
        .offset:         48
        .size:           8
        .value_kind:     global_buffer
      - .address_space:  global
        .offset:         56
        .size:           8
        .value_kind:     global_buffer
      - .address_space:  global
        .offset:         64
        .size:           8
        .value_kind:     global_buffer
      - .address_space:  global
        .offset:         72
        .size:           8
        .value_kind:     global_buffer
      - .offset:         80
        .size:           4
        .value_kind:     by_value
      - .address_space:  global
        .offset:         88
        .size:           8
        .value_kind:     global_buffer
      - .address_space:  global
        .offset:         96
        .size:           8
        .value_kind:     global_buffer
    .group_segment_fixed_size: 20280
    .kernarg_segment_align: 8
    .kernarg_segment_size: 104
    .language:       OpenCL C
    .language_version:
      - 2
      - 0
    .max_flat_workgroup_size: 195
    .name:           bluestein_single_back_len845_dim1_sp_op_CI_CI
    .private_segment_fixed_size: 0
    .sgpr_count:     64
    .sgpr_spill_count: 0
    .symbol:         bluestein_single_back_len845_dim1_sp_op_CI_CI.kd
    .uniform_work_group_size: 1
    .uses_dynamic_stack: false
    .vgpr_count:     275
    .vgpr_spill_count: 0
    .wavefront_size: 64
amdhsa.target:   amdgcn-amd-amdhsa--gfx950
amdhsa.version:
  - 1
  - 2
...

	.end_amdgpu_metadata
